;; amdgpu-corpus repo=ROCm/aiter kind=harvested arch=n/a opt=n/a

/root/src/amdgpu-assembly/repos/ROCm__aiter/hsa/gfx950/fmoe/gelu/fmoe_bf16_pertokenFp8_g1u1_vs_gelu_1tg_32x448.co:	file format elf64-amdgpu

Disassembly of section .text:

0000000000002e00 <_ZN5aiter45fmoe_bf16_pertokenFp8_g1u1_vs_gelu_1tg_32x448E>:
	s_and_b32 s1, s1, 0xffff                                   // 000000002E00: 8601FF01 0000FFFF
	s_load_dwordx2 s[8:9], s[0:1], 0x0                         // 000000002E08: C0060200 00000000
	s_load_dwordx2 s[20:21], s[0:1], 0x10                      // 000000002E10: C0060500 00000010
	s_load_dwordx2 s[24:25], s[0:1], 0x20                      // 000000002E18: C0060600 00000020
	s_load_dwordx2 s[50:51], s[0:1], 0x30                      // 000000002E20: C0060C80 00000030
	s_load_dwordx2 s[12:13], s[0:1], 0x40                      // 000000002E28: C0060300 00000040
	s_load_dwordx2 s[28:29], s[0:1], 0x50                      // 000000002E30: C0060700 00000050
	s_load_dwordx2 s[32:33], s[0:1], 0x60                      // 000000002E38: C0060800 00000060
	s_load_dwordx2 s[16:17], s[0:1], 0x70                      // 000000002E40: C0060400 00000070
	s_load_dwordx2 s[36:37], s[0:1], 0x80                      // 000000002E48: C0060900 00000080
	s_load_dwordx2 s[44:45], s[0:1], 0x90                      // 000000002E50: C0060B00 00000090
	s_load_dwordx2 s[40:41], s[0:1], 0xa0                      // 000000002E58: C0060A00 000000A0
	s_load_dwordx2 s[46:47], s[0:1], 0xb0                      // 000000002E60: C0060B80 000000B0
	s_load_dword s64, s[0:1], 0xc0                             // 000000002E68: C0021000 000000C0
	s_load_dword s65, s[0:1], 0xd0                             // 000000002E70: C0021040 000000D0
	s_load_dword s66, s[0:1], 0xe0                             // 000000002E78: C0021080 000000E0
	s_load_dword s67, s[0:1], 0xf0                             // 000000002E80: C00210C0 000000F0
	s_load_dword s68, s[0:1], 0x100                            // 000000002E88: C0021100 00000100
	s_load_dword s69, s[0:1], 0x110                            // 000000002E90: C0021140 00000110
	s_load_dword s70, s[0:1], 0x120                            // 000000002E98: C0021180 00000120
	s_load_dword s71, s[0:1], 0x130                            // 000000002EA0: C00211C0 00000130
	s_load_dword s72, s[0:1], 0x140                            // 000000002EA8: C0021200 00000140
	s_load_dword s73, s[0:1], 0x150                            // 000000002EB0: C0021240 00000150
	s_load_dword s74, s[0:1], 0x160                            // 000000002EB8: C0021280 00000160
	s_load_dword s75, s[0:1], 0x170                            // 000000002EC0: C00212C0 00000170
	s_load_dword s76, s[0:1], 0x180                            // 000000002EC8: C0021300 00000180
	v_lshrrev_b32_e32 v1, 10, v0                               // 000000002ED0: 2002008A
	v_lshrrev_b32_e32 v2, 10, v1                               // 000000002ED4: 2004028A
	v_and_b32_e32 v2, 0x3ff, v2                                // 000000002ED8: 260404FF 000003FF
	v_and_b32_e32 v1, 0x3ff, v1                                // 000000002EE0: 260202FF 000003FF
	v_and_b32_e32 v0, 0x3ff, v0                                // 000000002EE8: 260000FF 000003FF
	v_lshrrev_b32_e32 v3, 6, v0                                // 000000002EF0: 20060086
	v_and_b32_e32 v0, 63, v0                                   // 000000002EF4: 260000BF
	s_mov_b32 s2, s2                                           // 000000002EF8: BE820002
	s_mov_b32 s3, s3                                           // 000000002EFC: BE830003
	s_mov_b32 s4, s4                                           // 000000002F00: BE840004
	v_readfirstlane_b32 s7, v3                                 // 000000002F04: 7E0E0503
	s_waitcnt lgkmcnt(0)                                       // 000000002F08: BF8CC07F
	s_and_b32 s51, s51, 0xffff                                 // 000000002F0C: 8633FF33 0000FFFF
	s_load_dword s50, s[50:51], 0x0                            // 000000002F14: C0020C99 00000000
	s_and_b32 s45, s45, 0xffff                                 // 000000002F1C: 862DFF2D 0000FFFF
	s_and_b32 s47, s47, 0xffff                                 // 000000002F24: 862FFF2F 0000FFFF
	s_and_b32 s9, s9, 0xffff                                   // 000000002F2C: 8609FF09 0000FFFF
	s_mul_i32 s60, s66, s68                                    // 000000002F34: 923C4442
	s_mul_i32 s61, s66, 4                                      // 000000002F38: 923D8442
	s_mov_b32 s22, s60                                         // 000000002F3C: BE96003C
	s_mov_b32 s26, -16                                         // 000000002F40: BE9A00D0
	s_mov_b32 s14, -16                                         // 000000002F44: BE8E00D0
	s_mov_b32 s42, -16                                         // 000000002F48: BEAA00D0
	s_mov_b32 s30, s61                                         // 000000002F4C: BE9E003D
	s_mov_b32 s34, 0x700                                       // 000000002F50: BEA200FF 00000700
	s_mov_b32 s38, 0x700                                       // 000000002F58: BEA600FF 00000700
	s_mov_b32 s18, -16                                         // 000000002F60: BE9200D0
	s_mov_b32 s23, 0x20000                                     // 000000002F64: BE9700FF 00020000
	s_mov_b32 s27, 0x20000                                     // 000000002F6C: BE9B00FF 00020000
	s_mov_b32 s15, 0x20000                                     // 000000002F74: BE8F00FF 00020000
	s_mov_b32 s43, 0x20000                                     // 000000002F7C: BEAB00FF 00020000
	s_mov_b32 s31, 0x20000                                     // 000000002F84: BE9F00FF 00020000
	s_mov_b32 s35, 0x20000                                     // 000000002F8C: BEA300FF 00020000
	s_mov_b32 s39, 0x20000                                     // 000000002F94: BEA700FF 00020000
	s_mov_b32 s19, 0x20000                                     // 000000002F9C: BE9300FF 00020000
	s_and_b32 s21, s21, 0xffff                                 // 000000002FA4: 8615FF15 0000FFFF
	s_and_b32 s25, s25, 0xffff                                 // 000000002FAC: 8619FF19 0000FFFF
	s_and_b32 s13, s13, 0xffff                                 // 000000002FB4: 860DFF0D 0000FFFF
	s_and_b32 s41, s41, 0xffff                                 // 000000002FBC: 8629FF29 0000FFFF
	s_and_b32 s29, s29, 0xffff                                 // 000000002FC4: 861DFF1D 0000FFFF
	s_and_b32 s33, s33, 0xffff                                 // 000000002FCC: 8621FF21 0000FFFF
	s_and_b32 s37, s37, 0xffff                                 // 000000002FD4: 8625FF25 0000FFFF
	s_and_b32 s17, s17, 0xffff                                 // 000000002FDC: 8611FF11 0000FFFF
	s_or_b32 s21, s21, 0x40000                                 // 000000002FE4: 8715FF15 00040000
	s_or_b32 s25, s25, 0x40000                                 // 000000002FEC: 8719FF19 00040000
	s_or_b32 s13, s13, 0x40000                                 // 000000002FF4: 870DFF0D 00040000
	s_or_b32 s41, s41, 0x40000                                 // 000000002FFC: 8729FF29 00040000
	s_or_b32 s29, s29, 0x40000                                 // 000000003004: 871DFF1D 00040000
	s_or_b32 s33, s33, 0x40000                                 // 00000000300C: 8721FF21 00040000
	s_or_b32 s37, s37, 0x40000                                 // 000000003014: 8725FF25 00040000
	s_or_b32 s17, s17, 0x40000                                 // 00000000301C: 8711FF11 00040000
	v_accvgpr_write_b32 a223, 0                                // 000000003024: D3D940DF 18000080
	v_mov_b32_e32 v247, 0                                      // 00000000302C: 7FEE0280
	s_waitcnt lgkmcnt(0)                                       // 000000003030: BF8CC07F
	s_mul_i32 s60, s3, 32                                      // 000000003034: 923CA003
	s_cmp_lt_i32 s60, s50                                      // 000000003038: BF04323C
	s_cbranch_scc0 label_264D                                  // 00000000303C: BF8425BD
	s_mov_b32 s80, 0                                           // 000000003040: BED00080
	s_mov_b32 s81, s64                                         // 000000003044: BED10040
	s_mul_i32 s60, s3, 4                                       // 000000003048: 923C8403
	s_add_u32 s46, s60, s46                                    // 00000000304C: 802E2E3C
	s_addc_u32 s47, 0, s47                                     // 000000003050: 822F2F80
	s_load_dword s5, s[46:47], 0x0                             // 000000003054: C0020157 00000000
	s_mul_i32 s60, s3, 32                                      // 00000000305C: 923CA003
	s_mul_i32 s60, 4, s60                                      // 000000003060: 923C3C84
	v_and_b32_e32 v52, 15, v0                                  // 000000003064: 2668008F
	v_lshlrev_b32_e32 v52, 2, v52                              // 000000003068: 24686882
	v_add_u32_e32 v52, s60, v52                                // 00000000306C: 6868683C
	v_mov_b32_e32 v53, 0                                       // 000000003070: 7E6A0280
	global_load_dword v6, v52, s[44:45]                        // 000000003074: DC508000 062C0034
	v_add_u32_e32 v52, 64, v52                                 // 00000000307C: 686868C0
	global_load_dword v7, v52, s[44:45]                        // 000000003080: DC508000 072C0034
	s_mul_i32 s60, s3, 32                                      // 000000003088: 923CA003
	s_add_u32 s60, s7, s60                                     // 00000000308C: 803C3C07
	s_mul_i32 s60, 4, s60                                      // 000000003090: 923C3C84
	s_add_u32 s44, s60, s44                                    // 000000003094: 802C2C3C
	s_addc_u32 s45, 0, s45                                     // 000000003098: 822D2D80
	s_load_dword s82, s[44:45], 0x0                            // 00000000309C: C0021496 00000000
	s_load_dword s83, s[44:45], 0x10                           // 0000000030A4: C00214D6 00000010
	s_load_dword s84, s[44:45], 0x20                           // 0000000030AC: C0021516 00000020
	s_load_dword s85, s[44:45], 0x30                           // 0000000030B4: C0021556 00000030
	s_load_dword s86, s[44:45], 0x40                           // 0000000030BC: C0021596 00000040
	s_load_dword s87, s[44:45], 0x50                           // 0000000030C4: C00215D6 00000050
	s_load_dword s88, s[44:45], 0x60                           // 0000000030CC: C0021616 00000060
	s_load_dword s89, s[44:45], 0x70                           // 0000000030D4: C0021656 00000070
	s_waitcnt lgkmcnt(0)                                       // 0000000030DC: BF8CC07F
	v_lshlrev_b32_e32 v52, 2, v0                               // 0000000030E0: 24680082
	s_and_b32 s82, s82, 0xffffff                               // 0000000030E4: 8652FF52 00FFFFFF
	s_mul_i32 s60, s82, s68                                    // 0000000030EC: 923C4452
	v_add_u32_e64 v26, v52, s60                                // 0000000030F0: D134001A 00007934
	s_and_b32 s83, s83, 0xffffff                               // 0000000030F8: 8653FF53 00FFFFFF
	s_mul_i32 s60, s83, s68                                    // 000000003100: 923C4453
	v_add_u32_e64 v27, v52, s60                                // 000000003104: D134001B 00007934
	s_and_b32 s84, s84, 0xffffff                               // 00000000310C: 8654FF54 00FFFFFF
	s_mul_i32 s60, s84, s68                                    // 000000003114: 923C4454
	v_add_u32_e64 v28, v52, s60                                // 000000003118: D134001C 00007934
	s_and_b32 s85, s85, 0xffffff                               // 000000003120: 8655FF55 00FFFFFF
	s_mul_i32 s60, s85, s68                                    // 000000003128: 923C4455
	v_add_u32_e64 v29, v52, s60                                // 00000000312C: D134001D 00007934
	s_and_b32 s86, s86, 0xffffff                               // 000000003134: 8656FF56 00FFFFFF
	s_mul_i32 s60, s86, s68                                    // 00000000313C: 923C4456
	v_add_u32_e64 v30, v52, s60                                // 000000003140: D134001E 00007934
	s_and_b32 s87, s87, 0xffffff                               // 000000003148: 8657FF57 00FFFFFF
	s_mul_i32 s60, s87, s68                                    // 000000003150: 923C4457
	v_add_u32_e64 v31, v52, s60                                // 000000003154: D134001F 00007934
	s_and_b32 s88, s88, 0xffffff                               // 00000000315C: 8658FF58 00FFFFFF
	s_mul_i32 s60, s88, s68                                    // 000000003164: 923C4458
	v_add_u32_e64 v32, v52, s60                                // 000000003168: D1340020 00007934
	s_and_b32 s89, s89, 0xffffff                               // 000000003170: 8659FF59 00FFFFFF
	s_mul_i32 s60, s89, s68                                    // 000000003178: 923C4459
	v_add_u32_e64 v33, v52, s60                                // 00000000317C: D1340021 00007934
	v_lshlrev_b32_e32 v52, 2, v0                               // 000000003184: 24680082
	s_mul_i32 s60, s82, s71                                    // 000000003188: 923C4752
	v_add_u32_e64 v80, v52, s60                                // 00000000318C: D1340050 00007934
	v_mov_b32_e32 v81, 0                                       // 000000003194: 7EA20280
	s_mul_i32 s60, s83, s71                                    // 000000003198: 923C4753
	v_add_u32_e64 v82, v52, s60                                // 00000000319C: D1340052 00007934
	v_mov_b32_e32 v83, 0                                       // 0000000031A4: 7EA60280
	s_mul_i32 s60, s84, s71                                    // 0000000031A8: 923C4754
	v_add_u32_e64 v84, v52, s60                                // 0000000031AC: D1340054 00007934
	v_mov_b32_e32 v85, 0                                       // 0000000031B4: 7EAA0280
	s_mul_i32 s60, s85, s71                                    // 0000000031B8: 923C4755
	v_add_u32_e64 v86, v52, s60                                // 0000000031BC: D1340056 00007934
	v_mov_b32_e32 v87, 0                                       // 0000000031C4: 7EAE0280
	s_mul_i32 s60, s86, s71                                    // 0000000031C8: 923C4756
	v_add_u32_e64 v88, v52, s60                                // 0000000031CC: D1340058 00007934
	v_mov_b32_e32 v89, 0                                       // 0000000031D4: 7EB20280
	s_mul_i32 s60, s87, s71                                    // 0000000031D8: 923C4757
	v_add_u32_e64 v90, v52, s60                                // 0000000031DC: D134005A 00007934
	v_mov_b32_e32 v91, 0                                       // 0000000031E4: 7EB60280
	s_mul_i32 s60, s88, s71                                    // 0000000031E8: 923C4758
	v_add_u32_e64 v92, v52, s60                                // 0000000031EC: D134005C 00007934
	v_mov_b32_e32 v93, 0                                       // 0000000031F4: 7EBA0280
	s_mul_i32 s60, s89, s71                                    // 0000000031F8: 923C4759
	v_add_u32_e64 v94, v52, s60                                // 0000000031FC: D134005E 00007934
	v_mov_b32_e32 v95, 0                                       // 000000003204: 7EBE0280
	s_mul_i32 s60, s7, 0x820                                   // 000000003208: 923CFF07 00000820
	s_add_u32 s50, 0, s60                                      // 000000003210: 80323C80
	s_add_u32 s51, 0x2080, s50                                 // 000000003214: 803332FF 00002080
	v_lshrrev_b32_e32 v52, 4, v0                               // 00000000321C: 20680084
	v_lshlrev_b32_e32 v53, 2, v52                              // 000000003220: 246A6882
	v_and_b32_e32 v52, 15, v0                                  // 000000003224: 2668008F
	v_lshrrev_b32_e32 v54, 2, v52                              // 000000003228: 206C6882
	v_lshlrev_b32_e32 v54, 6, v54                              // 00000000322C: 246C6C86
	v_add_u32_e32 v53, v54, v53                                // 000000003230: 686A6B36
	v_and_b32_e32 v52, 3, v0                                   // 000000003234: 26680083
	v_mul_i32_i24_e32 v54, 0x208, v52                          // 000000003238: 0C6C68FF 00000208
	v_add_u32_e32 v53, v54, v53                                // 000000003240: 686A6B36
	v_lshlrev_b32_e32 v2, 2, v53                               // 000000003244: 24046A82
	s_mul_i32 s60, s2, 0x1c0                                   // 000000003248: 923CFF02 000001C0
	s_mul_i32 s60, s60, s69                                    // 000000003250: 923C453C
	s_mul_i32 s61, s5, s72                                     // 000000003254: 923D4805
	s_add_u32 s60, s61, s60                                    // 000000003258: 803C3C3D
	s_add_u32 s24, s60, s24                                    // 00000000325C: 8018183C
	s_addc_u32 s25, 0, s25                                     // 000000003260: 82191980
	s_mul_i32 s60, s7, 16                                      // 000000003264: 923C9007
	s_mul_i32 s60, s60, s69                                    // 000000003268: 923C453C
	v_lshlrev_b32_e32 v34, 4, v0                               // 00000000326C: 24440084
	v_add_u32_e32 v34, s60, v34                                // 000000003270: 6844443C
	s_mul_i32 s60, 64, s69                                     // 000000003274: 923C45C0
	v_add_u32_e32 v35, s60, v34                                // 000000003278: 6846443C
	v_add_u32_e32 v36, s60, v35                                // 00000000327C: 6848463C
	v_add_u32_e32 v37, s60, v36                                // 000000003280: 684A483C
	v_add_u32_e32 v38, s60, v37                                // 000000003284: 684C4A3C
	v_add_u32_e32 v39, s60, v38                                // 000000003288: 684E4C3C
	v_add_u32_e32 v40, s60, v39                                // 00000000328C: 68504E3C
	s_mov_b32 s92, s24                                         // 000000003290: BEDC0018
	s_mov_b32 s93, s25                                         // 000000003294: BEDD0019
	s_mov_b32 s94, s26                                         // 000000003298: BEDE001A
	s_mov_b32 s95, s27                                         // 00000000329C: BEDF001B
	s_mul_i32 s60, s69, s65                                    // 0000000032A0: 923C4145
	s_add_u32 s92, s60, s92                                    // 0000000032A4: 805C5C3C
	s_addc_u32 s93, 0, s93                                     // 0000000032A8: 825D5D80
	s_mul_i32 s60, s2, 0x1c00                                  // 0000000032AC: 923CFF02 00001C00
	s_mul_i32 s61, s5, s73                                     // 0000000032B4: 923D4905
	s_add_u32 s60, s61, s60                                    // 0000000032B8: 803C3C3D
	s_add_u32 s12, s60, s12                                    // 0000000032BC: 800C0C3C
	s_addc_u32 s13, 0, s13                                     // 0000000032C0: 820D0D80
	s_mul_i32 s60, s7, 16                                      // 0000000032C4: 923C9007
	s_mul_i32 s60, s60, s70                                    // 0000000032C8: 923C463C
	v_lshlrev_b32_e32 v41, 4, v0                               // 0000000032CC: 24520084
	v_add_u32_e32 v41, s60, v41                                // 0000000032D0: 6852523C
	s_mul_i32 s60, 64, s70                                     // 0000000032D4: 923C46C0
	v_add_u32_e32 v42, s60, v41                                // 0000000032D8: 6854523C
	v_add_u32_e32 v43, s60, v42                                // 0000000032DC: 6856543C
	v_add_u32_e32 v44, s60, v43                                // 0000000032E0: 6858563C
	s_mul_i32 s60, s70, 0x100                                  // 0000000032E4: 923CFF46 00000100
	s_mov_b32 s78, 0x400                                       // 0000000032EC: BECE00FF 00000400
	s_mul_i32 s61, s78, 6                                      // 0000000032F4: 923D864E
	s_sub_u32 s56, s60, s61                                    // 0000000032F8: 80B83D3C
	s_mul_i32 s60, s3, 32                                      // 0000000032FC: 923CA003
	s_mul_i32 s60, 4, s60                                      // 000000003300: 923C3C84
	s_add_u32 s40, s60, s40                                    // 000000003304: 8028283C
	s_addc_u32 s41, 0, s41                                     // 000000003308: 82292980
	v_and_b32_e32 v52, 15, v0                                  // 00000000330C: 2668008F
	v_lshlrev_b32_e32 v8, 2, v52                               // 000000003310: 24106882
	v_add_u32_e32 v9, 64, v8                                   // 000000003314: 681210C0
	v_lshrrev_b32_e32 v52, 4, v0                               // 000000003318: 20680084
	v_lshlrev_b32_e32 v53, 2, v52                              // 00000000331C: 246A6882
	v_and_b32_e32 v52, 15, v0                                  // 000000003320: 2668008F
	v_lshrrev_b32_e32 v54, 2, v52                              // 000000003324: 206C6882
	v_lshlrev_b32_e32 v54, 6, v54                              // 000000003328: 246C6C86
	v_add_u32_e32 v53, v54, v53                                // 00000000332C: 686A6B36
	v_and_b32_e32 v52, 3, v0                                   // 000000003330: 26680083
	v_add_u32_e32 v53, v52, v53                                // 000000003334: 686A6B34
	v_lshlrev_b32_e32 v10, 2, v53                              // 000000003338: 24146A82
	v_add_u32_e32 v11, 0x400, v10                              // 00000000333C: 681614FF 00000400
	s_mul_i32 s60, s7, 16                                      // 000000003344: 923C9007
	s_mul_i32 s60, s60, 4                                      // 000000003348: 923C843C
	v_add_u32_e32 v10, s60, v10                                // 00000000334C: 6814143C
	v_add_u32_e32 v11, s60, v11                                // 000000003350: 6816163C
	v_mov_b32_e32 v5, v10                                      // 000000003354: 7E0A030A
	s_mul_i32 s60, s2, 0x1c0                                   // 000000003358: 923CFF02 000001C0
	s_mul_i32 s60, s60, 4                                      // 000000003360: 923C843C
	s_mul_i32 s61, s5, s74                                     // 000000003364: 923D4A05
	s_add_u32 s61, s61, s60                                    // 000000003368: 803D3C3D
	s_mul_i32 s62, s5, s76                                     // 00000000336C: 923E4C05
	s_add_u32 s62, s62, s60                                    // 000000003370: 803E3C3E
	s_add_u32 s32, s61, s32                                    // 000000003374: 8020203D
	s_addc_u32 s33, 0, s33                                     // 000000003378: 82212180
	s_add_u32 s36, s62, s36                                    // 00000000337C: 8024243E
	s_addc_u32 s37, 0, s37                                     // 000000003380: 82252580
	s_mul_i32 s60, s5, s75                                     // 000000003384: 923C4B05
	s_add_u32 s16, s60, s16                                    // 000000003388: 8010103C
	s_addc_u32 s17, 0, s17                                     // 00000000338C: 82111180
	s_mov_b32 s57, 0x100                                       // 000000003390: BEB900FF 00000100
	s_mov_b32 s58, 0x1000                                      // 000000003398: BEBA00FF 00001000
	s_mov_b32 s79, 0x400                                       // 0000000033A0: BECF00FF 00000400
	s_mov_b32 s59, 0                                           // 0000000033A8: BEBB0080
	s_mov_b32 s90, s58                                         // 0000000033AC: BEDA003A
	s_mov_b32 s52, 0x7060302                                   // 0000000033B0: BEB400FF 07060302
	s_mov_b32 s53, 0x400                                       // 0000000033B8: BEB500FF 00000400
	s_mov_b32 s54, 0x40100                                     // 0000000033C0: BEB600FF 00040100
	s_mov_b32 s55, 0x4020100                                   // 0000000033C8: BEB700FF 04020100
	s_mov_b32 s6, 0x3fb8aa3b                                   // 0000000033D0: BE8600FF 3FB8AA3B
	s_mov_b32 s77, 0xbd92220c                                  // 0000000033D8: BECD00FF BD92220C
	s_mov_b32 m0, s50                                          // 0000000033E0: BEFC0032
	v_mov_b32_e32 v1, 0xbfcc4231                               // 0000000033E4: 7E0202FF BFCC4231
	v_mov_b32_e32 v46, 0xffff0000                              // 0000000033EC: 7E5C02FF FFFF0000
	v_mov_b32_e32 v47, 0x7fff0000                              // 0000000033F4: 7E5E02FF 7FFF0000
	v_mov_b32_e32 v48, 0x7fff                                  // 0000000033FC: 7E6002FF 00007FFF
	s_waitcnt vmcnt(0) expcnt(0) lgkmcnt(0)                    // 000000003404: BF8C0000
	v_and_b32_e32 v6, 0xffffff, v6                             // 000000003408: 260C0CFF 00FFFFFF
	v_and_b32_e32 v7, 0xffffff, v7                             // 000000003410: 260E0EFF 00FFFFFF
	v_lshlrev_b32_e32 v6, 2, v6                                // 000000003418: 240C0C82
	v_lshlrev_b32_e32 v7, 2, v7                                // 00000000341C: 240E0E82
	buffer_load_dword v14, v6, s[28:31], 0 offen               // 000000003420: E0501000 80070E06
	buffer_load_dword v15, v7, s[28:31], 0 offen               // 000000003428: E0501000 80070F07
	buffer_load_dword v16, v10, s[32:35], 0 offen              // 000000003430: E0501000 8008100A
	buffer_load_dword v17, v11, s[32:35], 0 offen              // 000000003438: E0501000 8008110B
	s_mul_i32 s60, 4, s65                                      // 000000003440: 923C4184
	s_add_u32 s32, s60, s32                                    // 000000003444: 8020203C
	s_addc_u32 s33, 0, s33                                     // 000000003448: 82212180
	buffer_load_dword v49, v10, s[32:35], 0 offen              // 00000000344C: E0501000 8008310A
	buffer_load_dword v50, v11, s[32:35], 0 offen              // 000000003454: E0501000 8008320B
	buffer_load_dword v20, v8, s[40:43], 0 offen               // 00000000345C: E0501000 800A1408
	buffer_load_dword v21, v9, s[40:43], 0 offen               // 000000003464: E0501000 800A1509
	buffer_load_dword v26, s[20:23], 0 offen lds               // 00000000346C: E0511000 8005001A
	s_add_u32 m0, 0x100, s50                                   // 000000003474: 807C32FF 00000100
	buffer_load_dword v27, s[20:23], 0 offen lds               // 00000000347C: E0511000 8005001B
	s_add_u32 m0, 0x200, s50                                   // 000000003484: 807C32FF 00000200
	buffer_load_dword v28, s[20:23], 0 offen lds               // 00000000348C: E0511000 8005001C
	s_add_u32 m0, 0x300, s50                                   // 000000003494: 807C32FF 00000300
	buffer_load_dword v29, s[20:23], 0 offen lds               // 00000000349C: E0511000 8005001D
	s_add_u32 m0, 0x400, s50                                   // 0000000034A4: 807C32FF 00000400
	buffer_load_dword v30, s[20:23], 0 offen lds               // 0000000034AC: E0511000 8005001E
	s_add_u32 m0, 0x500, s50                                   // 0000000034B4: 807C32FF 00000500
	buffer_load_dword v31, s[20:23], 0 offen lds               // 0000000034BC: E0511000 8005001F
	s_add_u32 m0, 0x600, s50                                   // 0000000034C4: 807C32FF 00000600
	buffer_load_dword v32, s[20:23], 0 offen lds               // 0000000034CC: E0511000 80050020
	s_add_u32 m0, 0x700, s50                                   // 0000000034D4: 807C32FF 00000700
	buffer_load_dword v33, s[20:23], 0 offen lds               // 0000000034DC: E0511000 80050021
	s_add_u32 m0, 0, s51                                       // 0000000034E4: 807C3380
	s_add_u32 s20, s57, s20                                    // 0000000034E8: 80141439
	s_addc_u32 s21, 0, s21                                     // 0000000034EC: 82151580
	buffer_load_dwordx4 a[0:3], v34, s[24:27], 0 offen         // 0000000034F0: E05C1000 80860022
	buffer_load_dwordx4 a[4:7], v34, s[24:27], 0 offen offset:1024// 0000000034F8: E05C1400 80860422
	buffer_load_dwordx4 a[8:11], v34, s[24:27], 0 offen offset:2048// 000000003500: E05C1800 80860822
	buffer_load_dwordx4 a[12:15], v34, s[24:27], 0 offen offset:3072// 000000003508: E05C1C00 80860C22
	buffer_load_dwordx4 a[16:19], v35, s[24:27], 0 offen       // 000000003510: E05C1000 80861023
	buffer_load_dwordx4 a[20:23], v35, s[24:27], 0 offen offset:1024// 000000003518: E05C1400 80861423
	buffer_load_dwordx4 a[24:27], v35, s[24:27], 0 offen offset:2048// 000000003520: E05C1800 80861823
	buffer_load_dwordx4 a[28:31], v35, s[24:27], 0 offen offset:3072// 000000003528: E05C1C00 80861C23
	buffer_load_dwordx4 a[32:35], v36, s[24:27], 0 offen       // 000000003530: E05C1000 80862024
	buffer_load_dwordx4 a[36:39], v36, s[24:27], 0 offen offset:1024// 000000003538: E05C1400 80862424
	buffer_load_dwordx4 a[40:43], v36, s[24:27], 0 offen offset:2048// 000000003540: E05C1800 80862824
	buffer_load_dwordx4 a[44:47], v36, s[24:27], 0 offen offset:3072// 000000003548: E05C1C00 80862C24
	buffer_load_dwordx4 a[48:51], v37, s[24:27], 0 offen       // 000000003550: E05C1000 80863025
	buffer_load_dwordx4 a[52:55], v37, s[24:27], 0 offen offset:1024// 000000003558: E05C1400 80863425
	buffer_load_dwordx4 a[56:59], v37, s[24:27], 0 offen offset:2048// 000000003560: E05C1800 80863825
	buffer_load_dwordx4 a[60:63], v37, s[24:27], 0 offen offset:3072// 000000003568: E05C1C00 80863C25
	buffer_load_dwordx4 a[64:67], v38, s[24:27], 0 offen       // 000000003570: E05C1000 80864026
	buffer_load_dwordx4 a[68:71], v38, s[24:27], 0 offen offset:1024// 000000003578: E05C1400 80864426
	buffer_load_dwordx4 a[72:75], v38, s[24:27], 0 offen offset:2048// 000000003580: E05C1800 80864826
	buffer_load_dwordx4 a[76:79], v38, s[24:27], 0 offen offset:3072// 000000003588: E05C1C00 80864C26
	buffer_load_dwordx4 a[80:83], v39, s[24:27], 0 offen       // 000000003590: E05C1000 80865027
	buffer_load_dwordx4 a[84:87], v39, s[24:27], 0 offen offset:1024// 000000003598: E05C1400 80865427
	buffer_load_dwordx4 a[88:91], v39, s[24:27], 0 offen offset:2048// 0000000035A0: E05C1800 80865827
	buffer_load_dwordx4 a[92:95], v39, s[24:27], 0 offen offset:3072// 0000000035A8: E05C1C00 80865C27
	buffer_load_dwordx4 a[96:99], v40, s[24:27], 0 offen       // 0000000035B0: E05C1000 80866028
	buffer_load_dwordx4 a[100:103], v40, s[24:27], 0 offen offset:1024// 0000000035B8: E05C1400 80866428
	buffer_load_dwordx4 a[104:107], v40, s[24:27], 0 offen offset:2048// 0000000035C0: E05C1800 80866828
	buffer_load_dwordx4 a[108:111], v40, s[24:27], 0 offen offset:3072// 0000000035C8: E05C1C00 80866C28
	s_add_u32 s24, s58, s24                                    // 0000000035D0: 8018183A
	s_addc_u32 s25, 0, s25                                     // 0000000035D4: 82191980
	v_mov_b32_e32 v128, 0                                      // 0000000035D8: 7F000280
	v_mov_b32_e32 v64, 0                                       // 0000000035DC: 7E800280
	v_mov_b32_e32 v129, 0                                      // 0000000035E0: 7F020280
	v_mov_b32_e32 v65, 0                                       // 0000000035E4: 7E820280
	v_mov_b32_e32 v130, 0                                      // 0000000035E8: 7F040280
	v_mov_b32_e32 v66, 0                                       // 0000000035EC: 7E840280
	v_mov_b32_e32 v131, 0                                      // 0000000035F0: 7F060280
	v_mov_b32_e32 v67, 0                                       // 0000000035F4: 7E860280
	v_mov_b32_e32 v132, 0                                      // 0000000035F8: 7F080280
	v_mov_b32_e32 v68, 0                                       // 0000000035FC: 7E880280
	v_mov_b32_e32 v133, 0                                      // 000000003600: 7F0A0280
	v_mov_b32_e32 v69, 0                                       // 000000003604: 7E8A0280
	v_mov_b32_e32 v134, 0                                      // 000000003608: 7F0C0280
	v_mov_b32_e32 v70, 0                                       // 00000000360C: 7E8C0280
	v_mov_b32_e32 v135, 0                                      // 000000003610: 7F0E0280
	v_mov_b32_e32 v71, 0                                       // 000000003614: 7E8E0280
	v_mov_b32_e32 v136, 0                                      // 000000003618: 7F100280
	v_mov_b32_e32 v72, 0                                       // 00000000361C: 7E900280
	v_mov_b32_e32 v137, 0                                      // 000000003620: 7F120280
	v_mov_b32_e32 v73, 0                                       // 000000003624: 7E920280
	v_mov_b32_e32 v138, 0                                      // 000000003628: 7F140280
	v_mov_b32_e32 v74, 0                                       // 00000000362C: 7E940280
	v_mov_b32_e32 v139, 0                                      // 000000003630: 7F160280
	v_mov_b32_e32 v75, 0                                       // 000000003634: 7E960280
	v_mov_b32_e32 v140, 0                                      // 000000003638: 7F180280
	v_mov_b32_e32 v76, 0                                       // 00000000363C: 7E980280
	v_mov_b32_e32 v141, 0                                      // 000000003640: 7F1A0280
	v_mov_b32_e32 v77, 0                                       // 000000003644: 7E9A0280
	v_mov_b32_e32 v142, 0                                      // 000000003648: 7F1C0280
	v_mov_b32_e32 v78, 0                                       // 00000000364C: 7E9C0280
	v_mov_b32_e32 v143, 0                                      // 000000003650: 7F1E0280
	v_mov_b32_e32 v79, 0                                       // 000000003654: 7E9E0280
	v_mov_b32_e32 v144, 0                                      // 000000003658: 7F200280
	v_mov_b32_e32 v80, 0                                       // 00000000365C: 7EA00280
	v_mov_b32_e32 v145, 0                                      // 000000003660: 7F220280
	v_mov_b32_e32 v81, 0                                       // 000000003664: 7EA20280
	v_mov_b32_e32 v146, 0                                      // 000000003668: 7F240280
	v_mov_b32_e32 v82, 0                                       // 00000000366C: 7EA40280
	v_mov_b32_e32 v147, 0                                      // 000000003670: 7F260280
	v_mov_b32_e32 v83, 0                                       // 000000003674: 7EA60280
	v_mov_b32_e32 v148, 0                                      // 000000003678: 7F280280
	v_mov_b32_e32 v84, 0                                       // 00000000367C: 7EA80280
	v_mov_b32_e32 v149, 0                                      // 000000003680: 7F2A0280
	v_mov_b32_e32 v85, 0                                       // 000000003684: 7EAA0280
	v_mov_b32_e32 v150, 0                                      // 000000003688: 7F2C0280
	v_mov_b32_e32 v86, 0                                       // 00000000368C: 7EAC0280
	v_mov_b32_e32 v151, 0                                      // 000000003690: 7F2E0280
	v_mov_b32_e32 v87, 0                                       // 000000003694: 7EAE0280
	v_mov_b32_e32 v152, 0                                      // 000000003698: 7F300280
	v_mov_b32_e32 v88, 0                                       // 00000000369C: 7EB00280
	v_mov_b32_e32 v153, 0                                      // 0000000036A0: 7F320280
	v_mov_b32_e32 v89, 0                                       // 0000000036A4: 7EB20280
	v_mov_b32_e32 v154, 0                                      // 0000000036A8: 7F340280
	v_mov_b32_e32 v90, 0                                       // 0000000036AC: 7EB40280
	v_mov_b32_e32 v155, 0                                      // 0000000036B0: 7F360280
	v_mov_b32_e32 v91, 0                                       // 0000000036B4: 7EB60280
	v_mov_b32_e32 v156, 0                                      // 0000000036B8: 7F380280
	v_mov_b32_e32 v92, 0                                       // 0000000036BC: 7EB80280
	v_mov_b32_e32 v157, 0                                      // 0000000036C0: 7F3A0280
	v_mov_b32_e32 v93, 0                                       // 0000000036C4: 7EBA0280
	v_mov_b32_e32 v158, 0                                      // 0000000036C8: 7F3C0280
	v_mov_b32_e32 v94, 0                                       // 0000000036CC: 7EBC0280
	v_mov_b32_e32 v159, 0                                      // 0000000036D0: 7F3E0280
	v_mov_b32_e32 v95, 0                                       // 0000000036D4: 7EBE0280
	v_mov_b32_e32 v160, 0                                      // 0000000036D8: 7F400280
	v_mov_b32_e32 v96, 0                                       // 0000000036DC: 7EC00280
	v_mov_b32_e32 v161, 0                                      // 0000000036E0: 7F420280
	v_mov_b32_e32 v97, 0                                       // 0000000036E4: 7EC20280
	v_mov_b32_e32 v162, 0                                      // 0000000036E8: 7F440280
	v_mov_b32_e32 v98, 0                                       // 0000000036EC: 7EC40280
	v_mov_b32_e32 v163, 0                                      // 0000000036F0: 7F460280
	v_mov_b32_e32 v99, 0                                       // 0000000036F4: 7EC60280
	v_mov_b32_e32 v164, 0                                      // 0000000036F8: 7F480280
	v_mov_b32_e32 v100, 0                                      // 0000000036FC: 7EC80280
	v_mov_b32_e32 v165, 0                                      // 000000003700: 7F4A0280
	v_mov_b32_e32 v101, 0                                      // 000000003704: 7ECA0280
	v_mov_b32_e32 v166, 0                                      // 000000003708: 7F4C0280
	v_mov_b32_e32 v102, 0                                      // 00000000370C: 7ECC0280
	v_mov_b32_e32 v167, 0                                      // 000000003710: 7F4E0280
	v_mov_b32_e32 v103, 0                                      // 000000003714: 7ECE0280
	v_mov_b32_e32 v168, 0                                      // 000000003718: 7F500280
	v_mov_b32_e32 v104, 0                                      // 00000000371C: 7ED00280
	v_mov_b32_e32 v169, 0                                      // 000000003720: 7F520280
	v_mov_b32_e32 v105, 0                                      // 000000003724: 7ED20280
	v_mov_b32_e32 v170, 0                                      // 000000003728: 7F540280
	v_mov_b32_e32 v106, 0                                      // 00000000372C: 7ED40280
	v_mov_b32_e32 v171, 0                                      // 000000003730: 7F560280
	v_mov_b32_e32 v107, 0                                      // 000000003734: 7ED60280
	v_mov_b32_e32 v172, 0                                      // 000000003738: 7F580280
	v_mov_b32_e32 v108, 0                                      // 00000000373C: 7ED80280
	v_mov_b32_e32 v173, 0                                      // 000000003740: 7F5A0280
	v_mov_b32_e32 v109, 0                                      // 000000003744: 7EDA0280
	v_mov_b32_e32 v174, 0                                      // 000000003748: 7F5C0280
	v_mov_b32_e32 v110, 0                                      // 00000000374C: 7EDC0280
	v_mov_b32_e32 v175, 0                                      // 000000003750: 7F5E0280
	v_mov_b32_e32 v111, 0                                      // 000000003754: 7EDE0280
	v_mov_b32_e32 v176, 0                                      // 000000003758: 7F600280
	v_mov_b32_e32 v112, 0                                      // 00000000375C: 7EE00280
	v_mov_b32_e32 v177, 0                                      // 000000003760: 7F620280
	v_mov_b32_e32 v113, 0                                      // 000000003764: 7EE20280
	v_mov_b32_e32 v178, 0                                      // 000000003768: 7F640280
	v_mov_b32_e32 v114, 0                                      // 00000000376C: 7EE40280
	v_mov_b32_e32 v179, 0                                      // 000000003770: 7F660280
	v_mov_b32_e32 v115, 0                                      // 000000003774: 7EE60280
	v_mov_b32_e32 v180, 0                                      // 000000003778: 7F680280
	v_mov_b32_e32 v116, 0                                      // 00000000377C: 7EE80280
	v_mov_b32_e32 v181, 0                                      // 000000003780: 7F6A0280
	v_mov_b32_e32 v117, 0                                      // 000000003784: 7EEA0280
	v_mov_b32_e32 v182, 0                                      // 000000003788: 7F6C0280
	v_mov_b32_e32 v118, 0                                      // 00000000378C: 7EEC0280
	v_mov_b32_e32 v183, 0                                      // 000000003790: 7F6E0280
	v_mov_b32_e32 v119, 0                                      // 000000003794: 7EEE0280
	v_lshrrev_b32_e32 v52, 4, v0                               // 000000003798: 20680084
	v_mul_i32_i24_e32 v3, 34, v52                              // 00000000379C: 0C0668A2
	v_and_b32_e32 v52, 15, v0                                  // 0000000037A0: 2668008F
	v_mul_i32_i24_e32 v53, 2, v52                              // 0000000037A4: 0C6A6882
	v_add_u32_e32 v3, v53, v3                                  // 0000000037A8: 68060735
	s_mul_i32 s60, s7, 0x88                                    // 0000000037AC: 923CFF07 00000088
	v_add_u32_e32 v3, s60, v3                                  // 0000000037B4: 6806063C
	v_lshlrev_b32_e32 v3, 2, v3                                // 0000000037B8: 24060682
	v_lshrrev_b32_e32 v52, 1, v0                               // 0000000037BC: 20680081
	v_mul_i32_i24_e32 v4, 34, v52                              // 0000000037C0: 0C0868A2
	v_and_b32_e32 v53, 1, v0                                   // 0000000037C4: 266A0081
	v_add_u32_e32 v4, v53, v4                                  // 0000000037C8: 68080935
	s_mul_i32 s60, s7, 2                                       // 0000000037CC: 923C8207
	v_add_u32_e32 v4, s60, v4                                  // 0000000037D0: 6808083C
	v_lshlrev_b32_e32 v4, 2, v4                                // 0000000037D4: 24080882
	s_waitcnt vmcnt(28)                                        // 0000000037D8: BF8C4F7C
	s_barrier                                                  // 0000000037DC: BF8A0000
	ds_read_b128 v[184:187], v2                                // 0000000037E0: D9FE0000 B8000002
	ds_read_b128 v[188:191], v2 offset:64                      // 0000000037E8: D9FE0040 BC000002
	ds_read_b128 v[192:195], v2 offset:128                     // 0000000037F0: D9FE0080 C0000002
	ds_read_b128 v[196:199], v2 offset:192                     // 0000000037F8: D9FE00C0 C4000002
	ds_read_b128 v[200:203], v2 offset:1024                    // 000000003800: D9FE0400 C8000002
	ds_read_b128 v[204:207], v2 offset:1088                    // 000000003808: D9FE0440 CC000002
	ds_read_b128 v[208:211], v2 offset:1152                    // 000000003810: D9FE0480 D0000002
	ds_read_b128 v[212:215], v2 offset:1216                    // 000000003818: D9FE04C0 D4000002
	s_cmp_lt_i32 s7, 2                                         // 000000003820: BF048207
	s_cbranch_scc0 label_13C4                                  // 000000003824: BF84113A

0000000000003828 <label_028A>:
	s_waitcnt vmcnt(20) lgkmcnt(0)                             // 000000003828: BF8C4074
	s_barrier                                                  // 00000000382C: BF8A0000
	v_mfma_f32_16x16x32_fp8_fp8 v[128:131], a[0:1], v[184:185], v[128:131]// 000000003830: D3F30080 0E037100
	v_mfma_f32_16x16x32_fp8_fp8 v[128:131], a[2:3], v[186:187], v[128:131]// 000000003838: D3F30080 0E037502
	buffer_load_dwordx4 a[112:115], v34, s[92:95], 0 offen     // 000000003840: E05C1000 80977022
	v_mfma_f32_16x16x32_fp8_fp8 v[128:131], a[4:5], v[188:189], v[128:131]// 000000003848: D3F30080 0E037904
	v_mfma_f32_16x16x32_fp8_fp8 v[128:131], a[6:7], v[190:191], v[128:131]// 000000003850: D3F30080 0E037D06
	buffer_load_dword v26, s[20:23], 0 offen lds               // 000000003858: E0511000 8005001A
	s_add_u32 m0, 0x100, s51                                   // 000000003860: 807C33FF 00000100
	v_mfma_f32_16x16x32_fp8_fp8 v[128:131], a[8:9], v[192:193], v[128:131]// 000000003868: D3F30080 0E038108
	v_mfma_f32_16x16x32_fp8_fp8 v[128:131], a[10:11], v[194:195], v[128:131]// 000000003870: D3F30080 0E03850A
	buffer_load_dwordx4 a[116:119], v34, s[92:95], 0 offen offset:1024// 000000003878: E05C1400 80977422
	v_mfma_f32_16x16x32_fp8_fp8 v[128:131], a[12:13], v[196:197], v[128:131]// 000000003880: D3F30080 0E03890C
	v_mfma_f32_16x16x32_fp8_fp8 v[128:131], a[14:15], v[198:199], v[128:131]// 000000003888: D3F30080 0E038D0E
	buffer_load_dword v27, s[20:23], 0 offen lds               // 000000003890: E0511000 8005001B
	s_add_u32 m0, 0x200, s51                                   // 000000003898: 807C33FF 00000200
	v_mfma_f32_16x16x32_fp8_fp8 v[132:135], a[0:1], v[200:201], v[132:135]// 0000000038A0: D3F30084 0E139100
	v_mfma_f32_16x16x32_fp8_fp8 v[132:135], a[2:3], v[202:203], v[132:135]// 0000000038A8: D3F30084 0E139502
	buffer_load_dwordx4 a[120:123], v34, s[92:95], 0 offen offset:2048// 0000000038B0: E05C1800 80977822
	v_mfma_f32_16x16x32_fp8_fp8 v[132:135], a[4:5], v[204:205], v[132:135]// 0000000038B8: D3F30084 0E139904
	v_mfma_f32_16x16x32_fp8_fp8 v[132:135], a[6:7], v[206:207], v[132:135]// 0000000038C0: D3F30084 0E139D06
	buffer_load_dword v28, s[20:23], 0 offen lds               // 0000000038C8: E0511000 8005001C
	s_add_u32 m0, 0x300, s51                                   // 0000000038D0: 807C33FF 00000300
	v_mfma_f32_16x16x32_fp8_fp8 v[132:135], a[8:9], v[208:209], v[132:135]// 0000000038D8: D3F30084 0E13A108
	v_mfma_f32_16x16x32_fp8_fp8 v[132:135], a[10:11], v[210:211], v[132:135]// 0000000038E0: D3F30084 0E13A50A
	buffer_load_dwordx4 a[124:127], v34, s[92:95], 0 offen offset:3072// 0000000038E8: E05C1C00 80977C22
	v_mfma_f32_16x16x32_fp8_fp8 v[132:135], a[12:13], v[212:213], v[132:135]// 0000000038F0: D3F30084 0E13A90C
	v_mfma_f32_16x16x32_fp8_fp8 v[132:135], a[14:15], v[214:215], v[132:135]// 0000000038F8: D3F30084 0E13AD0E
	buffer_load_dword v29, s[20:23], 0 offen lds               // 000000003900: E0511000 8005001D
	s_add_u32 m0, 0x400, s51                                   // 000000003908: 807C33FF 00000400
	v_mfma_f32_16x16x32_fp8_fp8 v[136:139], a[16:17], v[184:185], v[136:139]// 000000003910: D3F30088 0E237110
	v_mfma_f32_16x16x32_fp8_fp8 v[136:139], a[18:19], v[186:187], v[136:139]// 000000003918: D3F30088 0E237512
	buffer_load_dwordx4 a[128:131], v35, s[92:95], 0 offen     // 000000003920: E05C1000 80978023
	v_mfma_f32_16x16x32_fp8_fp8 v[136:139], a[20:21], v[188:189], v[136:139]// 000000003928: D3F30088 0E237914
	v_mfma_f32_16x16x32_fp8_fp8 v[136:139], a[22:23], v[190:191], v[136:139]// 000000003930: D3F30088 0E237D16
	buffer_load_dword v30, s[20:23], 0 offen lds               // 000000003938: E0511000 8005001E
	s_add_u32 m0, 0x500, s51                                   // 000000003940: 807C33FF 00000500
	v_mfma_f32_16x16x32_fp8_fp8 v[136:139], a[24:25], v[192:193], v[136:139]// 000000003948: D3F30088 0E238118
	v_mfma_f32_16x16x32_fp8_fp8 v[136:139], a[26:27], v[194:195], v[136:139]// 000000003950: D3F30088 0E23851A
	buffer_load_dwordx4 a[132:135], v35, s[92:95], 0 offen offset:1024// 000000003958: E05C1400 80978423
	v_mfma_f32_16x16x32_fp8_fp8 v[136:139], a[28:29], v[196:197], v[136:139]// 000000003960: D3F30088 0E23891C
	v_mfma_f32_16x16x32_fp8_fp8 v[136:139], a[30:31], v[198:199], v[136:139]// 000000003968: D3F30088 0E238D1E
	buffer_load_dword v31, s[20:23], 0 offen lds               // 000000003970: E0511000 8005001F
	s_add_u32 m0, 0x600, s51                                   // 000000003978: 807C33FF 00000600
	v_mfma_f32_16x16x32_fp8_fp8 v[140:143], a[16:17], v[200:201], v[140:143]// 000000003980: D3F3008C 0E339110
	v_mfma_f32_16x16x32_fp8_fp8 v[140:143], a[18:19], v[202:203], v[140:143]// 000000003988: D3F3008C 0E339512
	buffer_load_dwordx4 a[136:139], v35, s[92:95], 0 offen offset:2048// 000000003990: E05C1800 80978823
	v_mfma_f32_16x16x32_fp8_fp8 v[140:143], a[20:21], v[204:205], v[140:143]// 000000003998: D3F3008C 0E339914
	v_mfma_f32_16x16x32_fp8_fp8 v[140:143], a[22:23], v[206:207], v[140:143]// 0000000039A0: D3F3008C 0E339D16
	buffer_load_dword v32, s[20:23], 0 offen lds               // 0000000039A8: E0511000 80050020
	s_add_u32 m0, 0x700, s51                                   // 0000000039B0: 807C33FF 00000700
	v_mfma_f32_16x16x32_fp8_fp8 v[140:143], a[24:25], v[208:209], v[140:143]// 0000000039B8: D3F3008C 0E33A118
	v_mfma_f32_16x16x32_fp8_fp8 v[140:143], a[26:27], v[210:211], v[140:143]// 0000000039C0: D3F3008C 0E33A51A
	buffer_load_dwordx4 a[140:143], v35, s[92:95], 0 offen offset:3072// 0000000039C8: E05C1C00 80978C23
	v_mfma_f32_16x16x32_fp8_fp8 v[140:143], a[28:29], v[212:213], v[140:143]// 0000000039D0: D3F3008C 0E33A91C
	v_mfma_f32_16x16x32_fp8_fp8 v[140:143], a[30:31], v[214:215], v[140:143]// 0000000039D8: D3F3008C 0E33AD1E
	buffer_load_dword v33, s[20:23], 0 offen lds               // 0000000039E0: E0511000 80050021
	s_add_u32 m0, 0, s50                                       // 0000000039E8: 807C3280
	s_waitcnt vmcnt(32)                                        // 0000000039EC: BF8C8F70
	v_mfma_f32_16x16x32_fp8_fp8 v[144:147], a[32:33], v[184:185], v[144:147]// 0000000039F0: D3F30090 0E437120
	v_mfma_f32_16x16x32_fp8_fp8 v[144:147], a[34:35], v[186:187], v[144:147]// 0000000039F8: D3F30090 0E437522
	buffer_load_dwordx4 a[144:147], v36, s[92:95], 0 offen     // 000000003A00: E05C1000 80979024
	v_mfma_f32_16x16x32_fp8_fp8 v[144:147], a[36:37], v[188:189], v[144:147]// 000000003A08: D3F30090 0E437924
	v_mfma_f32_16x16x32_fp8_fp8 v[144:147], a[38:39], v[190:191], v[144:147]// 000000003A10: D3F30090 0E437D26
	v_mfma_f32_16x16x32_fp8_fp8 v[144:147], a[40:41], v[192:193], v[144:147]// 000000003A18: D3F30090 0E438128
	v_mfma_f32_16x16x32_fp8_fp8 v[144:147], a[42:43], v[194:195], v[144:147]// 000000003A20: D3F30090 0E43852A
	buffer_load_dwordx4 a[148:151], v36, s[92:95], 0 offen offset:1024// 000000003A28: E05C1400 80979424
	v_mfma_f32_16x16x32_fp8_fp8 v[144:147], a[44:45], v[196:197], v[144:147]// 000000003A30: D3F30090 0E43892C
	v_mfma_f32_16x16x32_fp8_fp8 v[144:147], a[46:47], v[198:199], v[144:147]// 000000003A38: D3F30090 0E438D2E
	v_mfma_f32_16x16x32_fp8_fp8 v[148:151], a[32:33], v[200:201], v[148:151]// 000000003A40: D3F30094 0E539120
	v_mfma_f32_16x16x32_fp8_fp8 v[148:151], a[34:35], v[202:203], v[148:151]// 000000003A48: D3F30094 0E539522
	buffer_load_dwordx4 a[152:155], v36, s[92:95], 0 offen offset:2048// 000000003A50: E05C1800 80979824
	v_mfma_f32_16x16x32_fp8_fp8 v[148:151], a[36:37], v[204:205], v[148:151]// 000000003A58: D3F30094 0E539924
	v_mfma_f32_16x16x32_fp8_fp8 v[148:151], a[38:39], v[206:207], v[148:151]// 000000003A60: D3F30094 0E539D26
	v_mfma_f32_16x16x32_fp8_fp8 v[148:151], a[40:41], v[208:209], v[148:151]// 000000003A68: D3F30094 0E53A128
	v_mfma_f32_16x16x32_fp8_fp8 v[148:151], a[42:43], v[210:211], v[148:151]// 000000003A70: D3F30094 0E53A52A
	buffer_load_dwordx4 a[156:159], v36, s[92:95], 0 offen offset:3072// 000000003A78: E05C1C00 80979C24
	v_mfma_f32_16x16x32_fp8_fp8 v[148:151], a[44:45], v[212:213], v[148:151]// 000000003A80: D3F30094 0E53A92C
	v_mfma_f32_16x16x32_fp8_fp8 v[148:151], a[46:47], v[214:215], v[148:151]// 000000003A88: D3F30094 0E53AD2E
	s_waitcnt vmcnt(32)                                        // 000000003A90: BF8C8F70
	v_mfma_f32_16x16x32_fp8_fp8 v[152:155], a[48:49], v[184:185], v[152:155]// 000000003A94: D3F30098 0E637130
	v_mfma_f32_16x16x32_fp8_fp8 v[152:155], a[50:51], v[186:187], v[152:155]// 000000003A9C: D3F30098 0E637532
	buffer_load_dwordx4 a[160:163], v37, s[92:95], 0 offen     // 000000003AA4: E05C1000 8097A025
	v_mfma_f32_16x16x32_fp8_fp8 v[152:155], a[52:53], v[188:189], v[152:155]// 000000003AAC: D3F30098 0E637934
	v_mfma_f32_16x16x32_fp8_fp8 v[152:155], a[54:55], v[190:191], v[152:155]// 000000003AB4: D3F30098 0E637D36
	v_mfma_f32_16x16x32_fp8_fp8 v[152:155], a[56:57], v[192:193], v[152:155]// 000000003ABC: D3F30098 0E638138
	v_mfma_f32_16x16x32_fp8_fp8 v[152:155], a[58:59], v[194:195], v[152:155]// 000000003AC4: D3F30098 0E63853A
	buffer_load_dwordx4 a[164:167], v37, s[92:95], 0 offen offset:1024// 000000003ACC: E05C1400 8097A425
	v_mfma_f32_16x16x32_fp8_fp8 v[152:155], a[60:61], v[196:197], v[152:155]// 000000003AD4: D3F30098 0E63893C
	v_mfma_f32_16x16x32_fp8_fp8 v[152:155], a[62:63], v[198:199], v[152:155]// 000000003ADC: D3F30098 0E638D3E
	v_mfma_f32_16x16x32_fp8_fp8 v[156:159], a[48:49], v[200:201], v[156:159]// 000000003AE4: D3F3009C 0E739130
	v_mfma_f32_16x16x32_fp8_fp8 v[156:159], a[50:51], v[202:203], v[156:159]// 000000003AEC: D3F3009C 0E739532
	buffer_load_dwordx4 a[168:171], v37, s[92:95], 0 offen offset:2048// 000000003AF4: E05C1800 8097A825
	v_mfma_f32_16x16x32_fp8_fp8 v[156:159], a[52:53], v[204:205], v[156:159]// 000000003AFC: D3F3009C 0E739934
	v_mfma_f32_16x16x32_fp8_fp8 v[156:159], a[54:55], v[206:207], v[156:159]// 000000003B04: D3F3009C 0E739D36
	v_mfma_f32_16x16x32_fp8_fp8 v[156:159], a[56:57], v[208:209], v[156:159]// 000000003B0C: D3F3009C 0E73A138
	v_mfma_f32_16x16x32_fp8_fp8 v[156:159], a[58:59], v[210:211], v[156:159]// 000000003B14: D3F3009C 0E73A53A
	buffer_load_dwordx4 a[172:175], v37, s[92:95], 0 offen offset:3072// 000000003B1C: E05C1C00 8097AC25
	v_mfma_f32_16x16x32_fp8_fp8 v[156:159], a[60:61], v[212:213], v[156:159]// 000000003B24: D3F3009C 0E73A93C
	v_mfma_f32_16x16x32_fp8_fp8 v[156:159], a[62:63], v[214:215], v[156:159]// 000000003B2C: D3F3009C 0E73AD3E
	s_waitcnt vmcnt(32)                                        // 000000003B34: BF8C8F70
	v_mfma_f32_16x16x32_fp8_fp8 v[160:163], a[64:65], v[184:185], v[160:163]// 000000003B38: D3F300A0 0E837140
	v_mfma_f32_16x16x32_fp8_fp8 v[160:163], a[66:67], v[186:187], v[160:163]// 000000003B40: D3F300A0 0E837542
	buffer_load_dwordx4 a[176:179], v38, s[92:95], 0 offen     // 000000003B48: E05C1000 8097B026
	v_mfma_f32_16x16x32_fp8_fp8 v[160:163], a[68:69], v[188:189], v[160:163]// 000000003B50: D3F300A0 0E837944
	v_mfma_f32_16x16x32_fp8_fp8 v[160:163], a[70:71], v[190:191], v[160:163]// 000000003B58: D3F300A0 0E837D46
	v_mfma_f32_16x16x32_fp8_fp8 v[160:163], a[72:73], v[192:193], v[160:163]// 000000003B60: D3F300A0 0E838148
	v_mfma_f32_16x16x32_fp8_fp8 v[160:163], a[74:75], v[194:195], v[160:163]// 000000003B68: D3F300A0 0E83854A
	buffer_load_dwordx4 a[180:183], v38, s[92:95], 0 offen offset:1024// 000000003B70: E05C1400 8097B426
	v_mfma_f32_16x16x32_fp8_fp8 v[160:163], a[76:77], v[196:197], v[160:163]// 000000003B78: D3F300A0 0E83894C
	v_mfma_f32_16x16x32_fp8_fp8 v[160:163], a[78:79], v[198:199], v[160:163]// 000000003B80: D3F300A0 0E838D4E
	v_mfma_f32_16x16x32_fp8_fp8 v[164:167], a[64:65], v[200:201], v[164:167]// 000000003B88: D3F300A4 0E939140
	v_mfma_f32_16x16x32_fp8_fp8 v[164:167], a[66:67], v[202:203], v[164:167]// 000000003B90: D3F300A4 0E939542
	buffer_load_dwordx4 a[184:187], v38, s[92:95], 0 offen offset:2048// 000000003B98: E05C1800 8097B826
	v_mfma_f32_16x16x32_fp8_fp8 v[164:167], a[68:69], v[204:205], v[164:167]// 000000003BA0: D3F300A4 0E939944
	v_mfma_f32_16x16x32_fp8_fp8 v[164:167], a[70:71], v[206:207], v[164:167]// 000000003BA8: D3F300A4 0E939D46
	v_mfma_f32_16x16x32_fp8_fp8 v[164:167], a[72:73], v[208:209], v[164:167]// 000000003BB0: D3F300A4 0E93A148
	v_mfma_f32_16x16x32_fp8_fp8 v[164:167], a[74:75], v[210:211], v[164:167]// 000000003BB8: D3F300A4 0E93A54A
	buffer_load_dwordx4 a[188:191], v38, s[92:95], 0 offen offset:3072// 000000003BC0: E05C1C00 8097BC26
	v_mfma_f32_16x16x32_fp8_fp8 v[164:167], a[76:77], v[212:213], v[164:167]// 000000003BC8: D3F300A4 0E93A94C
	v_mfma_f32_16x16x32_fp8_fp8 v[164:167], a[78:79], v[214:215], v[164:167]// 000000003BD0: D3F300A4 0E93AD4E
	s_waitcnt vmcnt(32)                                        // 000000003BD8: BF8C8F70
	v_mfma_f32_16x16x32_fp8_fp8 v[168:171], a[80:81], v[184:185], v[168:171]// 000000003BDC: D3F300A8 0EA37150
	v_mfma_f32_16x16x32_fp8_fp8 v[168:171], a[82:83], v[186:187], v[168:171]// 000000003BE4: D3F300A8 0EA37552
	buffer_load_dwordx4 a[192:195], v39, s[92:95], 0 offen     // 000000003BEC: E05C1000 8097C027
	v_mfma_f32_16x16x32_fp8_fp8 v[168:171], a[84:85], v[188:189], v[168:171]// 000000003BF4: D3F300A8 0EA37954
	v_mfma_f32_16x16x32_fp8_fp8 v[168:171], a[86:87], v[190:191], v[168:171]// 000000003BFC: D3F300A8 0EA37D56
	v_mfma_f32_16x16x32_fp8_fp8 v[168:171], a[88:89], v[192:193], v[168:171]// 000000003C04: D3F300A8 0EA38158
	v_mfma_f32_16x16x32_fp8_fp8 v[168:171], a[90:91], v[194:195], v[168:171]// 000000003C0C: D3F300A8 0EA3855A
	buffer_load_dwordx4 a[196:199], v39, s[92:95], 0 offen offset:1024// 000000003C14: E05C1400 8097C427
	v_mfma_f32_16x16x32_fp8_fp8 v[168:171], a[92:93], v[196:197], v[168:171]// 000000003C1C: D3F300A8 0EA3895C
	v_mfma_f32_16x16x32_fp8_fp8 v[168:171], a[94:95], v[198:199], v[168:171]// 000000003C24: D3F300A8 0EA38D5E
	v_mfma_f32_16x16x32_fp8_fp8 v[172:175], a[80:81], v[200:201], v[172:175]// 000000003C2C: D3F300AC 0EB39150
	v_mfma_f32_16x16x32_fp8_fp8 v[172:175], a[82:83], v[202:203], v[172:175]// 000000003C34: D3F300AC 0EB39552
	buffer_load_dwordx4 a[200:203], v39, s[92:95], 0 offen offset:2048// 000000003C3C: E05C1800 8097C827
	v_mfma_f32_16x16x32_fp8_fp8 v[172:175], a[84:85], v[204:205], v[172:175]// 000000003C44: D3F300AC 0EB39954
	v_mfma_f32_16x16x32_fp8_fp8 v[172:175], a[86:87], v[206:207], v[172:175]// 000000003C4C: D3F300AC 0EB39D56
	v_mfma_f32_16x16x32_fp8_fp8 v[172:175], a[88:89], v[208:209], v[172:175]// 000000003C54: D3F300AC 0EB3A158
	v_mfma_f32_16x16x32_fp8_fp8 v[172:175], a[90:91], v[210:211], v[172:175]// 000000003C5C: D3F300AC 0EB3A55A
	buffer_load_dwordx4 a[204:207], v39, s[92:95], 0 offen offset:3072// 000000003C64: E05C1C00 8097CC27
	v_mfma_f32_16x16x32_fp8_fp8 v[172:175], a[92:93], v[212:213], v[172:175]// 000000003C6C: D3F300AC 0EB3A95C
	v_mfma_f32_16x16x32_fp8_fp8 v[172:175], a[94:95], v[214:215], v[172:175]// 000000003C74: D3F300AC 0EB3AD5E
	s_waitcnt vmcnt(32)                                        // 000000003C7C: BF8C8F70
	v_mfma_f32_16x16x32_fp8_fp8 v[176:179], a[96:97], v[184:185], v[176:179]// 000000003C80: D3F300B0 0EC37160
	v_mfma_f32_16x16x32_fp8_fp8 v[176:179], a[98:99], v[186:187], v[176:179]// 000000003C88: D3F300B0 0EC37562
	buffer_load_dwordx4 a[208:211], v40, s[92:95], 0 offen     // 000000003C90: E05C1000 8097D028
	v_mfma_f32_16x16x32_fp8_fp8 v[176:179], a[100:101], v[188:189], v[176:179]// 000000003C98: D3F300B0 0EC37964
	v_mfma_f32_16x16x32_fp8_fp8 v[176:179], a[102:103], v[190:191], v[176:179]// 000000003CA0: D3F300B0 0EC37D66
	v_mfma_f32_16x16x32_fp8_fp8 v[176:179], a[104:105], v[192:193], v[176:179]// 000000003CA8: D3F300B0 0EC38168
	v_mfma_f32_16x16x32_fp8_fp8 v[176:179], a[106:107], v[194:195], v[176:179]// 000000003CB0: D3F300B0 0EC3856A
	buffer_load_dwordx4 a[212:215], v40, s[92:95], 0 offen offset:1024// 000000003CB8: E05C1400 8097D428
	v_mfma_f32_16x16x32_fp8_fp8 v[176:179], a[108:109], v[196:197], v[176:179]// 000000003CC0: D3F300B0 0EC3896C
	v_mfma_f32_16x16x32_fp8_fp8 v[176:179], a[110:111], v[198:199], v[176:179]// 000000003CC8: D3F300B0 0EC38D6E
	v_mfma_f32_16x16x32_fp8_fp8 v[180:183], a[96:97], v[200:201], v[180:183]// 000000003CD0: D3F300B4 0ED39160
	v_mfma_f32_16x16x32_fp8_fp8 v[180:183], a[98:99], v[202:203], v[180:183]// 000000003CD8: D3F300B4 0ED39562
	buffer_load_dwordx4 a[216:219], v40, s[92:95], 0 offen offset:2048// 000000003CE0: E05C1800 8097D828
	v_mfma_f32_16x16x32_fp8_fp8 v[180:183], a[100:101], v[204:205], v[180:183]// 000000003CE8: D3F300B4 0ED39964
	v_mfma_f32_16x16x32_fp8_fp8 v[180:183], a[102:103], v[206:207], v[180:183]// 000000003CF0: D3F300B4 0ED39D66
	v_mfma_f32_16x16x32_fp8_fp8 v[180:183], a[104:105], v[208:209], v[180:183]// 000000003CF8: D3F300B4 0ED3A168
	v_mfma_f32_16x16x32_fp8_fp8 v[180:183], a[106:107], v[210:211], v[180:183]// 000000003D00: D3F300B4 0ED3A56A
	buffer_load_dwordx4 a[220:223], v40, s[92:95], 0 offen offset:3072// 000000003D08: E05C1C00 8097DC28
	v_mfma_f32_16x16x32_fp8_fp8 v[180:183], a[108:109], v[212:213], v[180:183]// 000000003D10: D3F300B4 0ED3A96C
	v_mfma_f32_16x16x32_fp8_fp8 v[180:183], a[110:111], v[214:215], v[180:183]// 000000003D18: D3F300B4 0ED3AD6E
	s_waitcnt vmcnt(20)                                        // 000000003D20: BF8C4F74
	s_barrier                                                  // 000000003D24: BF8A0000
	v_mfma_f32_16x16x32_fp8_fp8 v[64:67], a[112:113], v[184:185], v[64:67]// 000000003D28: D3F30040 0D037170
	v_mfma_f32_16x16x32_fp8_fp8 v[64:67], a[114:115], v[186:187], v[64:67]// 000000003D30: D3F30040 0D037572
	buffer_load_dwordx4 a[0:3], v34, s[24:27], 0 offen         // 000000003D38: E05C1000 80860022
	v_mfma_f32_16x16x32_fp8_fp8 v[64:67], a[116:117], v[188:189], v[64:67]// 000000003D40: D3F30040 0D037974
	v_mfma_f32_16x16x32_fp8_fp8 v[64:67], a[118:119], v[190:191], v[64:67]// 000000003D48: D3F30040 0D037D76
	v_mfma_f32_16x16x32_fp8_fp8 v[64:67], a[120:121], v[192:193], v[64:67]// 000000003D50: D3F30040 0D038178
	v_mfma_f32_16x16x32_fp8_fp8 v[64:67], a[122:123], v[194:195], v[64:67]// 000000003D58: D3F30040 0D03857A
	buffer_load_dwordx4 a[4:7], v34, s[24:27], 0 offen offset:1024// 000000003D60: E05C1400 80860422
	v_mfma_f32_16x16x32_fp8_fp8 v[64:67], a[124:125], v[196:197], v[64:67]// 000000003D68: D3F30040 0D03897C
	v_mfma_f32_16x16x32_fp8_fp8 v[64:67], a[126:127], v[198:199], v[64:67]// 000000003D70: D3F30040 0D038D7E
	v_mfma_f32_16x16x32_fp8_fp8 v[68:71], a[112:113], v[200:201], v[68:71]// 000000003D78: D3F30044 0D139170
	v_mfma_f32_16x16x32_fp8_fp8 v[68:71], a[114:115], v[202:203], v[68:71]// 000000003D80: D3F30044 0D139572
	buffer_load_dwordx4 a[8:11], v34, s[24:27], 0 offen offset:2048// 000000003D88: E05C1800 80860822
	v_mfma_f32_16x16x32_fp8_fp8 v[68:71], a[116:117], v[204:205], v[68:71]// 000000003D90: D3F30044 0D139974
	v_mfma_f32_16x16x32_fp8_fp8 v[68:71], a[118:119], v[206:207], v[68:71]// 000000003D98: D3F30044 0D139D76
	v_mfma_f32_16x16x32_fp8_fp8 v[68:71], a[120:121], v[208:209], v[68:71]// 000000003DA0: D3F30044 0D13A178
	v_mfma_f32_16x16x32_fp8_fp8 v[68:71], a[122:123], v[210:211], v[68:71]// 000000003DA8: D3F30044 0D13A57A
	buffer_load_dwordx4 a[12:15], v34, s[24:27], 0 offen offset:3072// 000000003DB0: E05C1C00 80860C22
	v_mfma_f32_16x16x32_fp8_fp8 v[68:71], a[124:125], v[212:213], v[68:71]// 000000003DB8: D3F30044 0D13A97C
	v_mfma_f32_16x16x32_fp8_fp8 v[68:71], a[126:127], v[214:215], v[68:71]// 000000003DC0: D3F30044 0D13AD7E
	v_mfma_f32_16x16x32_fp8_fp8 v[72:75], a[128:129], v[184:185], v[72:75]// 000000003DC8: D3F30048 0D237180
	v_mfma_f32_16x16x32_fp8_fp8 v[72:75], a[130:131], v[186:187], v[72:75]// 000000003DD0: D3F30048 0D237582
	buffer_load_dwordx4 a[16:19], v35, s[24:27], 0 offen       // 000000003DD8: E05C1000 80861023
	v_mfma_f32_16x16x32_fp8_fp8 v[72:75], a[132:133], v[188:189], v[72:75]// 000000003DE0: D3F30048 0D237984
	v_mfma_f32_16x16x32_fp8_fp8 v[72:75], a[134:135], v[190:191], v[72:75]// 000000003DE8: D3F30048 0D237D86
	v_mfma_f32_16x16x32_fp8_fp8 v[72:75], a[136:137], v[192:193], v[72:75]// 000000003DF0: D3F30048 0D238188
	v_mfma_f32_16x16x32_fp8_fp8 v[72:75], a[138:139], v[194:195], v[72:75]// 000000003DF8: D3F30048 0D23858A
	buffer_load_dwordx4 a[20:23], v35, s[24:27], 0 offen offset:1024// 000000003E00: E05C1400 80861423
	v_mfma_f32_16x16x32_fp8_fp8 v[72:75], a[140:141], v[196:197], v[72:75]// 000000003E08: D3F30048 0D23898C
	v_mfma_f32_16x16x32_fp8_fp8 v[72:75], a[142:143], v[198:199], v[72:75]// 000000003E10: D3F30048 0D238D8E
	v_mfma_f32_16x16x32_fp8_fp8 v[76:79], a[128:129], v[200:201], v[76:79]// 000000003E18: D3F3004C 0D339180
	v_mfma_f32_16x16x32_fp8_fp8 v[76:79], a[130:131], v[202:203], v[76:79]// 000000003E20: D3F3004C 0D339582
	buffer_load_dwordx4 a[24:27], v35, s[24:27], 0 offen offset:2048// 000000003E28: E05C1800 80861823
	v_mfma_f32_16x16x32_fp8_fp8 v[76:79], a[132:133], v[204:205], v[76:79]// 000000003E30: D3F3004C 0D339984
	v_mfma_f32_16x16x32_fp8_fp8 v[76:79], a[134:135], v[206:207], v[76:79]// 000000003E38: D3F3004C 0D339D86
	v_mfma_f32_16x16x32_fp8_fp8 v[76:79], a[136:137], v[208:209], v[76:79]// 000000003E40: D3F3004C 0D33A188
	v_mfma_f32_16x16x32_fp8_fp8 v[76:79], a[138:139], v[210:211], v[76:79]// 000000003E48: D3F3004C 0D33A58A
	buffer_load_dwordx4 a[28:31], v35, s[24:27], 0 offen offset:3072// 000000003E50: E05C1C00 80861C23
	v_mfma_f32_16x16x32_fp8_fp8 v[76:79], a[140:141], v[212:213], v[76:79]// 000000003E58: D3F3004C 0D33A98C
	v_mfma_f32_16x16x32_fp8_fp8 v[76:79], a[142:143], v[214:215], v[76:79]// 000000003E60: D3F3004C 0D33AD8E
	s_waitcnt vmcnt(24)                                        // 000000003E68: BF8C4F78
	v_mfma_f32_16x16x32_fp8_fp8 v[80:83], a[144:145], v[184:185], v[80:83]// 000000003E6C: D3F30050 0D437190
	v_mfma_f32_16x16x32_fp8_fp8 v[80:83], a[146:147], v[186:187], v[80:83]// 000000003E74: D3F30050 0D437592
	buffer_load_dwordx4 a[32:35], v36, s[24:27], 0 offen       // 000000003E7C: E05C1000 80862024
	v_mfma_f32_16x16x32_fp8_fp8 v[80:83], a[148:149], v[188:189], v[80:83]// 000000003E84: D3F30050 0D437994
	v_mfma_f32_16x16x32_fp8_fp8 v[80:83], a[150:151], v[190:191], v[80:83]// 000000003E8C: D3F30050 0D437D96
	ds_read_b128 v[216:219], v2 offset:8320                    // 000000003E94: D9FE2080 D8000002
	v_mfma_f32_16x16x32_fp8_fp8 v[80:83], a[152:153], v[192:193], v[80:83]// 000000003E9C: D3F30050 0D438198
	v_mfma_f32_16x16x32_fp8_fp8 v[80:83], a[154:155], v[194:195], v[80:83]// 000000003EA4: D3F30050 0D43859A
	buffer_load_dwordx4 a[36:39], v36, s[24:27], 0 offen offset:1024// 000000003EAC: E05C1400 80862424
	v_mfma_f32_16x16x32_fp8_fp8 v[80:83], a[156:157], v[196:197], v[80:83]// 000000003EB4: D3F30050 0D43899C
	v_mfma_f32_16x16x32_fp8_fp8 v[80:83], a[158:159], v[198:199], v[80:83]// 000000003EBC: D3F30050 0D438D9E
	ds_read_b128 v[220:223], v2 offset:8384                    // 000000003EC4: D9FE20C0 DC000002
	v_mfma_f32_16x16x32_fp8_fp8 v[84:87], a[144:145], v[200:201], v[84:87]// 000000003ECC: D3F30054 0D539190
	v_mfma_f32_16x16x32_fp8_fp8 v[84:87], a[146:147], v[202:203], v[84:87]// 000000003ED4: D3F30054 0D539592
	buffer_load_dwordx4 a[40:43], v36, s[24:27], 0 offen offset:2048// 000000003EDC: E05C1800 80862824
	v_mfma_f32_16x16x32_fp8_fp8 v[84:87], a[148:149], v[204:205], v[84:87]// 000000003EE4: D3F30054 0D539994
	v_mfma_f32_16x16x32_fp8_fp8 v[84:87], a[150:151], v[206:207], v[84:87]// 000000003EEC: D3F30054 0D539D96
	ds_read_b128 v[224:227], v2 offset:8448                    // 000000003EF4: D9FE2100 E0000002
	v_mfma_f32_16x16x32_fp8_fp8 v[84:87], a[152:153], v[208:209], v[84:87]// 000000003EFC: D3F30054 0D53A198
	v_mfma_f32_16x16x32_fp8_fp8 v[84:87], a[154:155], v[210:211], v[84:87]// 000000003F04: D3F30054 0D53A59A
	buffer_load_dwordx4 a[44:47], v36, s[24:27], 0 offen offset:3072// 000000003F0C: E05C1C00 80862C24
	v_mfma_f32_16x16x32_fp8_fp8 v[84:87], a[156:157], v[212:213], v[84:87]// 000000003F14: D3F30054 0D53A99C
	v_mfma_f32_16x16x32_fp8_fp8 v[84:87], a[158:159], v[214:215], v[84:87]// 000000003F1C: D3F30054 0D53AD9E
	ds_read_b128 v[228:231], v2 offset:8512                    // 000000003F24: D9FE2140 E4000002
	s_waitcnt vmcnt(24)                                        // 000000003F2C: BF8C4F78
	v_mfma_f32_16x16x32_fp8_fp8 v[88:91], a[160:161], v[184:185], v[88:91]// 000000003F30: D3F30058 0D6371A0
	v_mfma_f32_16x16x32_fp8_fp8 v[88:91], a[162:163], v[186:187], v[88:91]// 000000003F38: D3F30058 0D6375A2
	buffer_load_dwordx4 a[48:51], v37, s[24:27], 0 offen       // 000000003F40: E05C1000 80863025
	v_mfma_f32_16x16x32_fp8_fp8 v[88:91], a[164:165], v[188:189], v[88:91]// 000000003F48: D3F30058 0D6379A4
	v_mfma_f32_16x16x32_fp8_fp8 v[88:91], a[166:167], v[190:191], v[88:91]// 000000003F50: D3F30058 0D637DA6
	ds_read_b128 v[232:235], v2 offset:9344                    // 000000003F58: D9FE2480 E8000002
	v_mfma_f32_16x16x32_fp8_fp8 v[88:91], a[168:169], v[192:193], v[88:91]// 000000003F60: D3F30058 0D6381A8
	v_mfma_f32_16x16x32_fp8_fp8 v[88:91], a[170:171], v[194:195], v[88:91]// 000000003F68: D3F30058 0D6385AA
	buffer_load_dwordx4 a[52:55], v37, s[24:27], 0 offen offset:1024// 000000003F70: E05C1400 80863425
	v_mfma_f32_16x16x32_fp8_fp8 v[88:91], a[172:173], v[196:197], v[88:91]// 000000003F78: D3F30058 0D6389AC
	v_mfma_f32_16x16x32_fp8_fp8 v[88:91], a[174:175], v[198:199], v[88:91]// 000000003F80: D3F30058 0D638DAE
	ds_read_b128 v[236:239], v2 offset:9408                    // 000000003F88: D9FE24C0 EC000002
	v_mfma_f32_16x16x32_fp8_fp8 v[92:95], a[160:161], v[200:201], v[92:95]// 000000003F90: D3F3005C 0D7391A0
	v_mfma_f32_16x16x32_fp8_fp8 v[92:95], a[162:163], v[202:203], v[92:95]// 000000003F98: D3F3005C 0D7395A2
	buffer_load_dwordx4 a[56:59], v37, s[24:27], 0 offen offset:2048// 000000003FA0: E05C1800 80863825
	v_mfma_f32_16x16x32_fp8_fp8 v[92:95], a[164:165], v[204:205], v[92:95]// 000000003FA8: D3F3005C 0D7399A4
	v_mfma_f32_16x16x32_fp8_fp8 v[92:95], a[166:167], v[206:207], v[92:95]// 000000003FB0: D3F3005C 0D739DA6
	ds_read_b128 v[240:243], v2 offset:9472                    // 000000003FB8: D9FE2500 F0000002
	v_mfma_f32_16x16x32_fp8_fp8 v[92:95], a[168:169], v[208:209], v[92:95]// 000000003FC0: D3F3005C 0D73A1A8
	v_mfma_f32_16x16x32_fp8_fp8 v[92:95], a[170:171], v[210:211], v[92:95]// 000000003FC8: D3F3005C 0D73A5AA
	buffer_load_dwordx4 a[60:63], v37, s[24:27], 0 offen offset:3072// 000000003FD0: E05C1C00 80863C25
	v_mfma_f32_16x16x32_fp8_fp8 v[92:95], a[172:173], v[212:213], v[92:95]// 000000003FD8: D3F3005C 0D73A9AC
	v_mfma_f32_16x16x32_fp8_fp8 v[92:95], a[174:175], v[214:215], v[92:95]// 000000003FE0: D3F3005C 0D73ADAE
	ds_read_b128 v[244:247], v2 offset:9536                    // 000000003FE8: D9FE2540 F4000002
	s_waitcnt vmcnt(24)                                        // 000000003FF0: BF8C4F78
	v_mfma_f32_16x16x32_fp8_fp8 v[96:99], a[176:177], v[184:185], v[96:99]// 000000003FF4: D3F30060 0D8371B0
	v_mfma_f32_16x16x32_fp8_fp8 v[96:99], a[178:179], v[186:187], v[96:99]// 000000003FFC: D3F30060 0D8375B2
	buffer_load_dwordx4 a[64:67], v38, s[24:27], 0 offen       // 000000004004: E05C1000 80864026
	v_mfma_f32_16x16x32_fp8_fp8 v[96:99], a[180:181], v[188:189], v[96:99]// 00000000400C: D3F30060 0D8379B4
	v_mfma_f32_16x16x32_fp8_fp8 v[96:99], a[182:183], v[190:191], v[96:99]// 000000004014: D3F30060 0D837DB6
	v_mfma_f32_16x16x32_fp8_fp8 v[96:99], a[184:185], v[192:193], v[96:99]// 00000000401C: D3F30060 0D8381B8
	v_mfma_f32_16x16x32_fp8_fp8 v[96:99], a[186:187], v[194:195], v[96:99]// 000000004024: D3F30060 0D8385BA
	buffer_load_dwordx4 a[68:71], v38, s[24:27], 0 offen offset:1024// 00000000402C: E05C1400 80864426
	v_mfma_f32_16x16x32_fp8_fp8 v[96:99], a[188:189], v[196:197], v[96:99]// 000000004034: D3F30060 0D8389BC
	v_mfma_f32_16x16x32_fp8_fp8 v[96:99], a[190:191], v[198:199], v[96:99]// 00000000403C: D3F30060 0D838DBE
	v_mfma_f32_16x16x32_fp8_fp8 v[100:103], a[176:177], v[200:201], v[100:103]// 000000004044: D3F30064 0D9391B0
	v_mfma_f32_16x16x32_fp8_fp8 v[100:103], a[178:179], v[202:203], v[100:103]// 00000000404C: D3F30064 0D9395B2
	buffer_load_dwordx4 a[72:75], v38, s[24:27], 0 offen offset:2048// 000000004054: E05C1800 80864826
	v_mfma_f32_16x16x32_fp8_fp8 v[100:103], a[180:181], v[204:205], v[100:103]// 00000000405C: D3F30064 0D9399B4
	v_mfma_f32_16x16x32_fp8_fp8 v[100:103], a[182:183], v[206:207], v[100:103]// 000000004064: D3F30064 0D939DB6
	v_mfma_f32_16x16x32_fp8_fp8 v[100:103], a[184:185], v[208:209], v[100:103]// 00000000406C: D3F30064 0D93A1B8
	v_mfma_f32_16x16x32_fp8_fp8 v[100:103], a[186:187], v[210:211], v[100:103]// 000000004074: D3F30064 0D93A5BA
	buffer_load_dwordx4 a[76:79], v38, s[24:27], 0 offen offset:3072// 00000000407C: E05C1C00 80864C26
	v_mfma_f32_16x16x32_fp8_fp8 v[100:103], a[188:189], v[212:213], v[100:103]// 000000004084: D3F30064 0D93A9BC
	v_mfma_f32_16x16x32_fp8_fp8 v[100:103], a[190:191], v[214:215], v[100:103]// 00000000408C: D3F30064 0D93ADBE
	s_waitcnt vmcnt(24)                                        // 000000004094: BF8C4F78
	v_mfma_f32_16x16x32_fp8_fp8 v[104:107], a[192:193], v[184:185], v[104:107]// 000000004098: D3F30068 0DA371C0
	v_mfma_f32_16x16x32_fp8_fp8 v[104:107], a[194:195], v[186:187], v[104:107]// 0000000040A0: D3F30068 0DA375C2
	buffer_load_dwordx4 a[80:83], v39, s[24:27], 0 offen       // 0000000040A8: E05C1000 80865027
	v_mfma_f32_16x16x32_fp8_fp8 v[104:107], a[196:197], v[188:189], v[104:107]// 0000000040B0: D3F30068 0DA379C4
	v_mfma_f32_16x16x32_fp8_fp8 v[104:107], a[198:199], v[190:191], v[104:107]// 0000000040B8: D3F30068 0DA37DC6
	v_mfma_f32_16x16x32_fp8_fp8 v[104:107], a[200:201], v[192:193], v[104:107]// 0000000040C0: D3F30068 0DA381C8
	v_mfma_f32_16x16x32_fp8_fp8 v[104:107], a[202:203], v[194:195], v[104:107]// 0000000040C8: D3F30068 0DA385CA
	buffer_load_dwordx4 a[84:87], v39, s[24:27], 0 offen offset:1024// 0000000040D0: E05C1400 80865427
	v_mfma_f32_16x16x32_fp8_fp8 v[104:107], a[204:205], v[196:197], v[104:107]// 0000000040D8: D3F30068 0DA389CC
	v_mfma_f32_16x16x32_fp8_fp8 v[104:107], a[206:207], v[198:199], v[104:107]// 0000000040E0: D3F30068 0DA38DCE
	v_mfma_f32_16x16x32_fp8_fp8 v[108:111], a[192:193], v[200:201], v[108:111]// 0000000040E8: D3F3006C 0DB391C0
	v_mfma_f32_16x16x32_fp8_fp8 v[108:111], a[194:195], v[202:203], v[108:111]// 0000000040F0: D3F3006C 0DB395C2
	buffer_load_dwordx4 a[88:91], v39, s[24:27], 0 offen offset:2048// 0000000040F8: E05C1800 80865827
	v_mfma_f32_16x16x32_fp8_fp8 v[108:111], a[196:197], v[204:205], v[108:111]// 000000004100: D3F3006C 0DB399C4
	v_mfma_f32_16x16x32_fp8_fp8 v[108:111], a[198:199], v[206:207], v[108:111]// 000000004108: D3F3006C 0DB39DC6
	v_mfma_f32_16x16x32_fp8_fp8 v[108:111], a[200:201], v[208:209], v[108:111]// 000000004110: D3F3006C 0DB3A1C8
	v_mfma_f32_16x16x32_fp8_fp8 v[108:111], a[202:203], v[210:211], v[108:111]// 000000004118: D3F3006C 0DB3A5CA
	buffer_load_dwordx4 a[92:95], v39, s[24:27], 0 offen offset:3072// 000000004120: E05C1C00 80865C27
	v_mfma_f32_16x16x32_fp8_fp8 v[108:111], a[204:205], v[212:213], v[108:111]// 000000004128: D3F3006C 0DB3A9CC
	v_mfma_f32_16x16x32_fp8_fp8 v[108:111], a[206:207], v[214:215], v[108:111]// 000000004130: D3F3006C 0DB3ADCE
	s_waitcnt vmcnt(24)                                        // 000000004138: BF8C4F78
	v_mfma_f32_16x16x32_fp8_fp8 v[112:115], a[208:209], v[184:185], v[112:115]// 00000000413C: D3F30070 0DC371D0
	v_mfma_f32_16x16x32_fp8_fp8 v[112:115], a[210:211], v[186:187], v[112:115]// 000000004144: D3F30070 0DC375D2
	buffer_load_dwordx4 a[96:99], v40, s[24:27], 0 offen       // 00000000414C: E05C1000 80866028
	v_mfma_f32_16x16x32_fp8_fp8 v[112:115], a[212:213], v[188:189], v[112:115]// 000000004154: D3F30070 0DC379D4
	v_mfma_f32_16x16x32_fp8_fp8 v[112:115], a[214:215], v[190:191], v[112:115]// 00000000415C: D3F30070 0DC37DD6
	v_mfma_f32_16x16x32_fp8_fp8 v[112:115], a[216:217], v[192:193], v[112:115]// 000000004164: D3F30070 0DC381D8
	v_mfma_f32_16x16x32_fp8_fp8 v[112:115], a[218:219], v[194:195], v[112:115]// 00000000416C: D3F30070 0DC385DA
	buffer_load_dwordx4 a[100:103], v40, s[24:27], 0 offen offset:1024// 000000004174: E05C1400 80866428
	v_mfma_f32_16x16x32_fp8_fp8 v[112:115], a[220:221], v[196:197], v[112:115]// 00000000417C: D3F30070 0DC389DC
	v_mfma_f32_16x16x32_fp8_fp8 v[112:115], a[222:223], v[198:199], v[112:115]// 000000004184: D3F30070 0DC38DDE
	v_mfma_f32_16x16x32_fp8_fp8 v[116:119], a[208:209], v[200:201], v[116:119]// 00000000418C: D3F30074 0DD391D0
	v_mfma_f32_16x16x32_fp8_fp8 v[116:119], a[210:211], v[202:203], v[116:119]// 000000004194: D3F30074 0DD395D2
	buffer_load_dwordx4 a[104:107], v40, s[24:27], 0 offen offset:2048// 00000000419C: E05C1800 80866828
	v_mfma_f32_16x16x32_fp8_fp8 v[116:119], a[212:213], v[204:205], v[116:119]// 0000000041A4: D3F30074 0DD399D4
	v_mfma_f32_16x16x32_fp8_fp8 v[116:119], a[214:215], v[206:207], v[116:119]// 0000000041AC: D3F30074 0DD39DD6
	v_mfma_f32_16x16x32_fp8_fp8 v[116:119], a[216:217], v[208:209], v[116:119]// 0000000041B4: D3F30074 0DD3A1D8
	v_mfma_f32_16x16x32_fp8_fp8 v[116:119], a[218:219], v[210:211], v[116:119]// 0000000041BC: D3F30074 0DD3A5DA
	buffer_load_dwordx4 a[108:111], v40, s[24:27], 0 offen offset:3072// 0000000041C4: E05C1C00 80866C28
	v_mfma_f32_16x16x32_fp8_fp8 v[116:119], a[220:221], v[212:213], v[116:119]// 0000000041CC: D3F30074 0DD3A9DC
	v_mfma_f32_16x16x32_fp8_fp8 v[116:119], a[222:223], v[214:215], v[116:119]// 0000000041D4: D3F30074 0DD3ADDE
	s_add_u32 s60, 0x200, s80                                  // 0000000041DC: 803C50FF 00000200
	s_cmp_lt_u32 s60, s81                                      // 0000000041E4: BF0A513C
	s_cselect_b32 s57, s57, 0                                  // 0000000041E8: 85398039
	s_add_u32 s60, 0x200, s80                                  // 0000000041EC: 803C50FF 00000200
	s_cmp_lt_u32 s60, s81                                      // 0000000041F4: BF0A513C
	s_cselect_b32 s58, s58, 0                                  // 0000000041F8: 853A803A
	s_add_u32 s20, s57, s20                                    // 0000000041FC: 80141439
	s_addc_u32 s21, 0, s21                                     // 000000004200: 82151580
	s_add_u32 s24, s58, s24                                    // 000000004204: 8018183A
	s_addc_u32 s25, 0, s25                                     // 000000004208: 82191980
	s_add_u32 s92, s90, s92                                    // 00000000420C: 805C5C5A
	s_addc_u32 s93, 0, s93                                     // 000000004210: 825D5D80
	s_addk_i32 s80, 0x100                                      // 000000004214: B7500100
	s_cmp_lt_i32 s80, s81                                      // 000000004218: BF045150
	s_cbranch_scc0 label_0787                                  // 00000000421C: BF84027F
	s_waitcnt vmcnt(20) lgkmcnt(0)                             // 000000004220: BF8C4074
	s_barrier                                                  // 000000004224: BF8A0000
	v_mfma_f32_16x16x32_fp8_fp8 v[128:131], a[0:1], v[216:217], v[128:131]// 000000004228: D3F30080 0E03B100
	v_mfma_f32_16x16x32_fp8_fp8 v[128:131], a[2:3], v[218:219], v[128:131]// 000000004230: D3F30080 0E03B502
	buffer_load_dwordx4 a[112:115], v34, s[92:95], 0 offen     // 000000004238: E05C1000 80977022
	v_mfma_f32_16x16x32_fp8_fp8 v[128:131], a[4:5], v[220:221], v[128:131]// 000000004240: D3F30080 0E03B904
	v_mfma_f32_16x16x32_fp8_fp8 v[128:131], a[6:7], v[222:223], v[128:131]// 000000004248: D3F30080 0E03BD06
	buffer_load_dword v26, s[20:23], 0 offen lds               // 000000004250: E0511000 8005001A
	s_add_u32 m0, 0x100, s50                                   // 000000004258: 807C32FF 00000100
	v_mfma_f32_16x16x32_fp8_fp8 v[128:131], a[8:9], v[224:225], v[128:131]// 000000004260: D3F30080 0E03C108
	v_mfma_f32_16x16x32_fp8_fp8 v[128:131], a[10:11], v[226:227], v[128:131]// 000000004268: D3F30080 0E03C50A
	buffer_load_dwordx4 a[116:119], v34, s[92:95], 0 offen offset:1024// 000000004270: E05C1400 80977422
	v_mfma_f32_16x16x32_fp8_fp8 v[128:131], a[12:13], v[228:229], v[128:131]// 000000004278: D3F30080 0E03C90C
	v_mfma_f32_16x16x32_fp8_fp8 v[128:131], a[14:15], v[230:231], v[128:131]// 000000004280: D3F30080 0E03CD0E
	buffer_load_dword v27, s[20:23], 0 offen lds               // 000000004288: E0511000 8005001B
	s_add_u32 m0, 0x200, s50                                   // 000000004290: 807C32FF 00000200
	v_mfma_f32_16x16x32_fp8_fp8 v[132:135], a[0:1], v[232:233], v[132:135]// 000000004298: D3F30084 0E13D100
	v_mfma_f32_16x16x32_fp8_fp8 v[132:135], a[2:3], v[234:235], v[132:135]// 0000000042A0: D3F30084 0E13D502
	buffer_load_dwordx4 a[120:123], v34, s[92:95], 0 offen offset:2048// 0000000042A8: E05C1800 80977822
	v_mfma_f32_16x16x32_fp8_fp8 v[132:135], a[4:5], v[236:237], v[132:135]// 0000000042B0: D3F30084 0E13D904
	v_mfma_f32_16x16x32_fp8_fp8 v[132:135], a[6:7], v[238:239], v[132:135]// 0000000042B8: D3F30084 0E13DD06
	buffer_load_dword v28, s[20:23], 0 offen lds               // 0000000042C0: E0511000 8005001C
	s_add_u32 m0, 0x300, s50                                   // 0000000042C8: 807C32FF 00000300
	v_mfma_f32_16x16x32_fp8_fp8 v[132:135], a[8:9], v[240:241], v[132:135]// 0000000042D0: D3F30084 0E13E108
	v_mfma_f32_16x16x32_fp8_fp8 v[132:135], a[10:11], v[242:243], v[132:135]// 0000000042D8: D3F30084 0E13E50A
	buffer_load_dwordx4 a[124:127], v34, s[92:95], 0 offen offset:3072// 0000000042E0: E05C1C00 80977C22
	v_mfma_f32_16x16x32_fp8_fp8 v[132:135], a[12:13], v[244:245], v[132:135]// 0000000042E8: D3F30084 0E13E90C
	v_mfma_f32_16x16x32_fp8_fp8 v[132:135], a[14:15], v[246:247], v[132:135]// 0000000042F0: D3F30084 0E13ED0E
	buffer_load_dword v29, s[20:23], 0 offen lds               // 0000000042F8: E0511000 8005001D
	s_add_u32 m0, 0x400, s50                                   // 000000004300: 807C32FF 00000400
	v_mfma_f32_16x16x32_fp8_fp8 v[136:139], a[16:17], v[216:217], v[136:139]// 000000004308: D3F30088 0E23B110
	v_mfma_f32_16x16x32_fp8_fp8 v[136:139], a[18:19], v[218:219], v[136:139]// 000000004310: D3F30088 0E23B512
	buffer_load_dwordx4 a[128:131], v35, s[92:95], 0 offen     // 000000004318: E05C1000 80978023
	v_mfma_f32_16x16x32_fp8_fp8 v[136:139], a[20:21], v[220:221], v[136:139]// 000000004320: D3F30088 0E23B914
	v_mfma_f32_16x16x32_fp8_fp8 v[136:139], a[22:23], v[222:223], v[136:139]// 000000004328: D3F30088 0E23BD16
	buffer_load_dword v30, s[20:23], 0 offen lds               // 000000004330: E0511000 8005001E
	s_add_u32 m0, 0x500, s50                                   // 000000004338: 807C32FF 00000500
	v_mfma_f32_16x16x32_fp8_fp8 v[136:139], a[24:25], v[224:225], v[136:139]// 000000004340: D3F30088 0E23C118
	v_mfma_f32_16x16x32_fp8_fp8 v[136:139], a[26:27], v[226:227], v[136:139]// 000000004348: D3F30088 0E23C51A
	buffer_load_dwordx4 a[132:135], v35, s[92:95], 0 offen offset:1024// 000000004350: E05C1400 80978423
	v_mfma_f32_16x16x32_fp8_fp8 v[136:139], a[28:29], v[228:229], v[136:139]// 000000004358: D3F30088 0E23C91C
	v_mfma_f32_16x16x32_fp8_fp8 v[136:139], a[30:31], v[230:231], v[136:139]// 000000004360: D3F30088 0E23CD1E
	buffer_load_dword v31, s[20:23], 0 offen lds               // 000000004368: E0511000 8005001F
	s_add_u32 m0, 0x600, s50                                   // 000000004370: 807C32FF 00000600
	v_mfma_f32_16x16x32_fp8_fp8 v[140:143], a[16:17], v[232:233], v[140:143]// 000000004378: D3F3008C 0E33D110
	v_mfma_f32_16x16x32_fp8_fp8 v[140:143], a[18:19], v[234:235], v[140:143]// 000000004380: D3F3008C 0E33D512
	buffer_load_dwordx4 a[136:139], v35, s[92:95], 0 offen offset:2048// 000000004388: E05C1800 80978823
	v_mfma_f32_16x16x32_fp8_fp8 v[140:143], a[20:21], v[236:237], v[140:143]// 000000004390: D3F3008C 0E33D914
	v_mfma_f32_16x16x32_fp8_fp8 v[140:143], a[22:23], v[238:239], v[140:143]// 000000004398: D3F3008C 0E33DD16
	buffer_load_dword v32, s[20:23], 0 offen lds               // 0000000043A0: E0511000 80050020
	s_add_u32 m0, 0x700, s50                                   // 0000000043A8: 807C32FF 00000700
	v_mfma_f32_16x16x32_fp8_fp8 v[140:143], a[24:25], v[240:241], v[140:143]// 0000000043B0: D3F3008C 0E33E118
	v_mfma_f32_16x16x32_fp8_fp8 v[140:143], a[26:27], v[242:243], v[140:143]// 0000000043B8: D3F3008C 0E33E51A
	buffer_load_dwordx4 a[140:143], v35, s[92:95], 0 offen offset:3072// 0000000043C0: E05C1C00 80978C23
	v_mfma_f32_16x16x32_fp8_fp8 v[140:143], a[28:29], v[244:245], v[140:143]// 0000000043C8: D3F3008C 0E33E91C
	v_mfma_f32_16x16x32_fp8_fp8 v[140:143], a[30:31], v[246:247], v[140:143]// 0000000043D0: D3F3008C 0E33ED1E
	buffer_load_dword v33, s[20:23], 0 offen lds               // 0000000043D8: E0511000 80050021
	s_add_u32 m0, 0, s51                                       // 0000000043E0: 807C3380
	s_waitcnt vmcnt(32)                                        // 0000000043E4: BF8C8F70
	v_mfma_f32_16x16x32_fp8_fp8 v[144:147], a[32:33], v[216:217], v[144:147]// 0000000043E8: D3F30090 0E43B120
	v_mfma_f32_16x16x32_fp8_fp8 v[144:147], a[34:35], v[218:219], v[144:147]// 0000000043F0: D3F30090 0E43B522
	buffer_load_dwordx4 a[144:147], v36, s[92:95], 0 offen     // 0000000043F8: E05C1000 80979024
	v_mfma_f32_16x16x32_fp8_fp8 v[144:147], a[36:37], v[220:221], v[144:147]// 000000004400: D3F30090 0E43B924
	v_mfma_f32_16x16x32_fp8_fp8 v[144:147], a[38:39], v[222:223], v[144:147]// 000000004408: D3F30090 0E43BD26
	v_mfma_f32_16x16x32_fp8_fp8 v[144:147], a[40:41], v[224:225], v[144:147]// 000000004410: D3F30090 0E43C128
	v_mfma_f32_16x16x32_fp8_fp8 v[144:147], a[42:43], v[226:227], v[144:147]// 000000004418: D3F30090 0E43C52A
	buffer_load_dwordx4 a[148:151], v36, s[92:95], 0 offen offset:1024// 000000004420: E05C1400 80979424
	v_mfma_f32_16x16x32_fp8_fp8 v[144:147], a[44:45], v[228:229], v[144:147]// 000000004428: D3F30090 0E43C92C
	v_mfma_f32_16x16x32_fp8_fp8 v[144:147], a[46:47], v[230:231], v[144:147]// 000000004430: D3F30090 0E43CD2E
	v_mfma_f32_16x16x32_fp8_fp8 v[148:151], a[32:33], v[232:233], v[148:151]// 000000004438: D3F30094 0E53D120
	v_mfma_f32_16x16x32_fp8_fp8 v[148:151], a[34:35], v[234:235], v[148:151]// 000000004440: D3F30094 0E53D522
	buffer_load_dwordx4 a[152:155], v36, s[92:95], 0 offen offset:2048// 000000004448: E05C1800 80979824
	v_mfma_f32_16x16x32_fp8_fp8 v[148:151], a[36:37], v[236:237], v[148:151]// 000000004450: D3F30094 0E53D924
	v_mfma_f32_16x16x32_fp8_fp8 v[148:151], a[38:39], v[238:239], v[148:151]// 000000004458: D3F30094 0E53DD26
	v_mfma_f32_16x16x32_fp8_fp8 v[148:151], a[40:41], v[240:241], v[148:151]// 000000004460: D3F30094 0E53E128
	v_mfma_f32_16x16x32_fp8_fp8 v[148:151], a[42:43], v[242:243], v[148:151]// 000000004468: D3F30094 0E53E52A
	buffer_load_dwordx4 a[156:159], v36, s[92:95], 0 offen offset:3072// 000000004470: E05C1C00 80979C24
	v_mfma_f32_16x16x32_fp8_fp8 v[148:151], a[44:45], v[244:245], v[148:151]// 000000004478: D3F30094 0E53E92C
	v_mfma_f32_16x16x32_fp8_fp8 v[148:151], a[46:47], v[246:247], v[148:151]// 000000004480: D3F30094 0E53ED2E
	s_waitcnt vmcnt(32)                                        // 000000004488: BF8C8F70
	v_mfma_f32_16x16x32_fp8_fp8 v[152:155], a[48:49], v[216:217], v[152:155]// 00000000448C: D3F30098 0E63B130
	v_mfma_f32_16x16x32_fp8_fp8 v[152:155], a[50:51], v[218:219], v[152:155]// 000000004494: D3F30098 0E63B532
	buffer_load_dwordx4 a[160:163], v37, s[92:95], 0 offen     // 00000000449C: E05C1000 8097A025
	v_mfma_f32_16x16x32_fp8_fp8 v[152:155], a[52:53], v[220:221], v[152:155]// 0000000044A4: D3F30098 0E63B934
	v_mfma_f32_16x16x32_fp8_fp8 v[152:155], a[54:55], v[222:223], v[152:155]// 0000000044AC: D3F30098 0E63BD36
	v_mfma_f32_16x16x32_fp8_fp8 v[152:155], a[56:57], v[224:225], v[152:155]// 0000000044B4: D3F30098 0E63C138
	v_mfma_f32_16x16x32_fp8_fp8 v[152:155], a[58:59], v[226:227], v[152:155]// 0000000044BC: D3F30098 0E63C53A
	buffer_load_dwordx4 a[164:167], v37, s[92:95], 0 offen offset:1024// 0000000044C4: E05C1400 8097A425
	v_mfma_f32_16x16x32_fp8_fp8 v[152:155], a[60:61], v[228:229], v[152:155]// 0000000044CC: D3F30098 0E63C93C
	v_mfma_f32_16x16x32_fp8_fp8 v[152:155], a[62:63], v[230:231], v[152:155]// 0000000044D4: D3F30098 0E63CD3E
	v_mfma_f32_16x16x32_fp8_fp8 v[156:159], a[48:49], v[232:233], v[156:159]// 0000000044DC: D3F3009C 0E73D130
	v_mfma_f32_16x16x32_fp8_fp8 v[156:159], a[50:51], v[234:235], v[156:159]// 0000000044E4: D3F3009C 0E73D532
	buffer_load_dwordx4 a[168:171], v37, s[92:95], 0 offen offset:2048// 0000000044EC: E05C1800 8097A825
	v_mfma_f32_16x16x32_fp8_fp8 v[156:159], a[52:53], v[236:237], v[156:159]// 0000000044F4: D3F3009C 0E73D934
	v_mfma_f32_16x16x32_fp8_fp8 v[156:159], a[54:55], v[238:239], v[156:159]// 0000000044FC: D3F3009C 0E73DD36
	v_mfma_f32_16x16x32_fp8_fp8 v[156:159], a[56:57], v[240:241], v[156:159]// 000000004504: D3F3009C 0E73E138
	v_mfma_f32_16x16x32_fp8_fp8 v[156:159], a[58:59], v[242:243], v[156:159]// 00000000450C: D3F3009C 0E73E53A
	buffer_load_dwordx4 a[172:175], v37, s[92:95], 0 offen offset:3072// 000000004514: E05C1C00 8097AC25
	v_mfma_f32_16x16x32_fp8_fp8 v[156:159], a[60:61], v[244:245], v[156:159]// 00000000451C: D3F3009C 0E73E93C
	v_mfma_f32_16x16x32_fp8_fp8 v[156:159], a[62:63], v[246:247], v[156:159]// 000000004524: D3F3009C 0E73ED3E
	s_waitcnt vmcnt(32)                                        // 00000000452C: BF8C8F70
	v_mfma_f32_16x16x32_fp8_fp8 v[160:163], a[64:65], v[216:217], v[160:163]// 000000004530: D3F300A0 0E83B140
	v_mfma_f32_16x16x32_fp8_fp8 v[160:163], a[66:67], v[218:219], v[160:163]// 000000004538: D3F300A0 0E83B542
	buffer_load_dwordx4 a[176:179], v38, s[92:95], 0 offen     // 000000004540: E05C1000 8097B026
	v_mfma_f32_16x16x32_fp8_fp8 v[160:163], a[68:69], v[220:221], v[160:163]// 000000004548: D3F300A0 0E83B944
	v_mfma_f32_16x16x32_fp8_fp8 v[160:163], a[70:71], v[222:223], v[160:163]// 000000004550: D3F300A0 0E83BD46
	v_mfma_f32_16x16x32_fp8_fp8 v[160:163], a[72:73], v[224:225], v[160:163]// 000000004558: D3F300A0 0E83C148
	v_mfma_f32_16x16x32_fp8_fp8 v[160:163], a[74:75], v[226:227], v[160:163]// 000000004560: D3F300A0 0E83C54A
	buffer_load_dwordx4 a[180:183], v38, s[92:95], 0 offen offset:1024// 000000004568: E05C1400 8097B426
	v_mfma_f32_16x16x32_fp8_fp8 v[160:163], a[76:77], v[228:229], v[160:163]// 000000004570: D3F300A0 0E83C94C
	v_mfma_f32_16x16x32_fp8_fp8 v[160:163], a[78:79], v[230:231], v[160:163]// 000000004578: D3F300A0 0E83CD4E
	v_mfma_f32_16x16x32_fp8_fp8 v[164:167], a[64:65], v[232:233], v[164:167]// 000000004580: D3F300A4 0E93D140
	v_mfma_f32_16x16x32_fp8_fp8 v[164:167], a[66:67], v[234:235], v[164:167]// 000000004588: D3F300A4 0E93D542
	buffer_load_dwordx4 a[184:187], v38, s[92:95], 0 offen offset:2048// 000000004590: E05C1800 8097B826
	v_mfma_f32_16x16x32_fp8_fp8 v[164:167], a[68:69], v[236:237], v[164:167]// 000000004598: D3F300A4 0E93D944
	v_mfma_f32_16x16x32_fp8_fp8 v[164:167], a[70:71], v[238:239], v[164:167]// 0000000045A0: D3F300A4 0E93DD46
	v_mfma_f32_16x16x32_fp8_fp8 v[164:167], a[72:73], v[240:241], v[164:167]// 0000000045A8: D3F300A4 0E93E148
	v_mfma_f32_16x16x32_fp8_fp8 v[164:167], a[74:75], v[242:243], v[164:167]// 0000000045B0: D3F300A4 0E93E54A
	buffer_load_dwordx4 a[188:191], v38, s[92:95], 0 offen offset:3072// 0000000045B8: E05C1C00 8097BC26
	v_mfma_f32_16x16x32_fp8_fp8 v[164:167], a[76:77], v[244:245], v[164:167]// 0000000045C0: D3F300A4 0E93E94C
	v_mfma_f32_16x16x32_fp8_fp8 v[164:167], a[78:79], v[246:247], v[164:167]// 0000000045C8: D3F300A4 0E93ED4E
	s_waitcnt vmcnt(32)                                        // 0000000045D0: BF8C8F70
	v_mfma_f32_16x16x32_fp8_fp8 v[168:171], a[80:81], v[216:217], v[168:171]// 0000000045D4: D3F300A8 0EA3B150
	v_mfma_f32_16x16x32_fp8_fp8 v[168:171], a[82:83], v[218:219], v[168:171]// 0000000045DC: D3F300A8 0EA3B552
	buffer_load_dwordx4 a[192:195], v39, s[92:95], 0 offen     // 0000000045E4: E05C1000 8097C027
	v_mfma_f32_16x16x32_fp8_fp8 v[168:171], a[84:85], v[220:221], v[168:171]// 0000000045EC: D3F300A8 0EA3B954
	v_mfma_f32_16x16x32_fp8_fp8 v[168:171], a[86:87], v[222:223], v[168:171]// 0000000045F4: D3F300A8 0EA3BD56
	v_mfma_f32_16x16x32_fp8_fp8 v[168:171], a[88:89], v[224:225], v[168:171]// 0000000045FC: D3F300A8 0EA3C158
	v_mfma_f32_16x16x32_fp8_fp8 v[168:171], a[90:91], v[226:227], v[168:171]// 000000004604: D3F300A8 0EA3C55A
	buffer_load_dwordx4 a[196:199], v39, s[92:95], 0 offen offset:1024// 00000000460C: E05C1400 8097C427
	v_mfma_f32_16x16x32_fp8_fp8 v[168:171], a[92:93], v[228:229], v[168:171]// 000000004614: D3F300A8 0EA3C95C
	v_mfma_f32_16x16x32_fp8_fp8 v[168:171], a[94:95], v[230:231], v[168:171]// 00000000461C: D3F300A8 0EA3CD5E
	v_mfma_f32_16x16x32_fp8_fp8 v[172:175], a[80:81], v[232:233], v[172:175]// 000000004624: D3F300AC 0EB3D150
	v_mfma_f32_16x16x32_fp8_fp8 v[172:175], a[82:83], v[234:235], v[172:175]// 00000000462C: D3F300AC 0EB3D552
	buffer_load_dwordx4 a[200:203], v39, s[92:95], 0 offen offset:2048// 000000004634: E05C1800 8097C827
	v_mfma_f32_16x16x32_fp8_fp8 v[172:175], a[84:85], v[236:237], v[172:175]// 00000000463C: D3F300AC 0EB3D954
	v_mfma_f32_16x16x32_fp8_fp8 v[172:175], a[86:87], v[238:239], v[172:175]// 000000004644: D3F300AC 0EB3DD56
	v_mfma_f32_16x16x32_fp8_fp8 v[172:175], a[88:89], v[240:241], v[172:175]// 00000000464C: D3F300AC 0EB3E158
	v_mfma_f32_16x16x32_fp8_fp8 v[172:175], a[90:91], v[242:243], v[172:175]// 000000004654: D3F300AC 0EB3E55A
	buffer_load_dwordx4 a[204:207], v39, s[92:95], 0 offen offset:3072// 00000000465C: E05C1C00 8097CC27
	v_mfma_f32_16x16x32_fp8_fp8 v[172:175], a[92:93], v[244:245], v[172:175]// 000000004664: D3F300AC 0EB3E95C
	v_mfma_f32_16x16x32_fp8_fp8 v[172:175], a[94:95], v[246:247], v[172:175]// 00000000466C: D3F300AC 0EB3ED5E
	s_waitcnt vmcnt(32)                                        // 000000004674: BF8C8F70
	v_mfma_f32_16x16x32_fp8_fp8 v[176:179], a[96:97], v[216:217], v[176:179]// 000000004678: D3F300B0 0EC3B160
	v_mfma_f32_16x16x32_fp8_fp8 v[176:179], a[98:99], v[218:219], v[176:179]// 000000004680: D3F300B0 0EC3B562
	buffer_load_dwordx4 a[208:211], v40, s[92:95], 0 offen     // 000000004688: E05C1000 8097D028
	v_mfma_f32_16x16x32_fp8_fp8 v[176:179], a[100:101], v[220:221], v[176:179]// 000000004690: D3F300B0 0EC3B964
	v_mfma_f32_16x16x32_fp8_fp8 v[176:179], a[102:103], v[222:223], v[176:179]// 000000004698: D3F300B0 0EC3BD66
	v_mfma_f32_16x16x32_fp8_fp8 v[176:179], a[104:105], v[224:225], v[176:179]// 0000000046A0: D3F300B0 0EC3C168
	v_mfma_f32_16x16x32_fp8_fp8 v[176:179], a[106:107], v[226:227], v[176:179]// 0000000046A8: D3F300B0 0EC3C56A
	buffer_load_dwordx4 a[212:215], v40, s[92:95], 0 offen offset:1024// 0000000046B0: E05C1400 8097D428
	v_mfma_f32_16x16x32_fp8_fp8 v[176:179], a[108:109], v[228:229], v[176:179]// 0000000046B8: D3F300B0 0EC3C96C
	v_mfma_f32_16x16x32_fp8_fp8 v[176:179], a[110:111], v[230:231], v[176:179]// 0000000046C0: D3F300B0 0EC3CD6E
	v_mfma_f32_16x16x32_fp8_fp8 v[180:183], a[96:97], v[232:233], v[180:183]// 0000000046C8: D3F300B4 0ED3D160
	v_mfma_f32_16x16x32_fp8_fp8 v[180:183], a[98:99], v[234:235], v[180:183]// 0000000046D0: D3F300B4 0ED3D562
	buffer_load_dwordx4 a[216:219], v40, s[92:95], 0 offen offset:2048// 0000000046D8: E05C1800 8097D828
	v_mfma_f32_16x16x32_fp8_fp8 v[180:183], a[100:101], v[236:237], v[180:183]// 0000000046E0: D3F300B4 0ED3D964
	v_mfma_f32_16x16x32_fp8_fp8 v[180:183], a[102:103], v[238:239], v[180:183]// 0000000046E8: D3F300B4 0ED3DD66
	v_mfma_f32_16x16x32_fp8_fp8 v[180:183], a[104:105], v[240:241], v[180:183]// 0000000046F0: D3F300B4 0ED3E168
	v_mfma_f32_16x16x32_fp8_fp8 v[180:183], a[106:107], v[242:243], v[180:183]// 0000000046F8: D3F300B4 0ED3E56A
	buffer_load_dwordx4 a[220:223], v40, s[92:95], 0 offen offset:3072// 000000004700: E05C1C00 8097DC28
	v_mfma_f32_16x16x32_fp8_fp8 v[180:183], a[108:109], v[244:245], v[180:183]// 000000004708: D3F300B4 0ED3E96C
	v_mfma_f32_16x16x32_fp8_fp8 v[180:183], a[110:111], v[246:247], v[180:183]// 000000004710: D3F300B4 0ED3ED6E
	s_waitcnt vmcnt(20)                                        // 000000004718: BF8C4F74
	s_barrier                                                  // 00000000471C: BF8A0000
	v_mfma_f32_16x16x32_fp8_fp8 v[64:67], a[112:113], v[216:217], v[64:67]// 000000004720: D3F30040 0D03B170
	v_mfma_f32_16x16x32_fp8_fp8 v[64:67], a[114:115], v[218:219], v[64:67]// 000000004728: D3F30040 0D03B572
	buffer_load_dwordx4 a[0:3], v34, s[24:27], 0 offen         // 000000004730: E05C1000 80860022
	v_mfma_f32_16x16x32_fp8_fp8 v[64:67], a[116:117], v[220:221], v[64:67]// 000000004738: D3F30040 0D03B974
	v_mfma_f32_16x16x32_fp8_fp8 v[64:67], a[118:119], v[222:223], v[64:67]// 000000004740: D3F30040 0D03BD76
	v_mfma_f32_16x16x32_fp8_fp8 v[64:67], a[120:121], v[224:225], v[64:67]// 000000004748: D3F30040 0D03C178
	v_mfma_f32_16x16x32_fp8_fp8 v[64:67], a[122:123], v[226:227], v[64:67]// 000000004750: D3F30040 0D03C57A
	buffer_load_dwordx4 a[4:7], v34, s[24:27], 0 offen offset:1024// 000000004758: E05C1400 80860422
	v_mfma_f32_16x16x32_fp8_fp8 v[64:67], a[124:125], v[228:229], v[64:67]// 000000004760: D3F30040 0D03C97C
	v_mfma_f32_16x16x32_fp8_fp8 v[64:67], a[126:127], v[230:231], v[64:67]// 000000004768: D3F30040 0D03CD7E
	v_mfma_f32_16x16x32_fp8_fp8 v[68:71], a[112:113], v[232:233], v[68:71]// 000000004770: D3F30044 0D13D170
	v_mfma_f32_16x16x32_fp8_fp8 v[68:71], a[114:115], v[234:235], v[68:71]// 000000004778: D3F30044 0D13D572
	buffer_load_dwordx4 a[8:11], v34, s[24:27], 0 offen offset:2048// 000000004780: E05C1800 80860822
	v_mfma_f32_16x16x32_fp8_fp8 v[68:71], a[116:117], v[236:237], v[68:71]// 000000004788: D3F30044 0D13D974
	v_mfma_f32_16x16x32_fp8_fp8 v[68:71], a[118:119], v[238:239], v[68:71]// 000000004790: D3F30044 0D13DD76
	v_mfma_f32_16x16x32_fp8_fp8 v[68:71], a[120:121], v[240:241], v[68:71]// 000000004798: D3F30044 0D13E178
	v_mfma_f32_16x16x32_fp8_fp8 v[68:71], a[122:123], v[242:243], v[68:71]// 0000000047A0: D3F30044 0D13E57A
	buffer_load_dwordx4 a[12:15], v34, s[24:27], 0 offen offset:3072// 0000000047A8: E05C1C00 80860C22
	v_mfma_f32_16x16x32_fp8_fp8 v[68:71], a[124:125], v[244:245], v[68:71]// 0000000047B0: D3F30044 0D13E97C
	v_mfma_f32_16x16x32_fp8_fp8 v[68:71], a[126:127], v[246:247], v[68:71]// 0000000047B8: D3F30044 0D13ED7E
	v_mfma_f32_16x16x32_fp8_fp8 v[72:75], a[128:129], v[216:217], v[72:75]// 0000000047C0: D3F30048 0D23B180
	v_mfma_f32_16x16x32_fp8_fp8 v[72:75], a[130:131], v[218:219], v[72:75]// 0000000047C8: D3F30048 0D23B582
	buffer_load_dwordx4 a[16:19], v35, s[24:27], 0 offen       // 0000000047D0: E05C1000 80861023
	v_mfma_f32_16x16x32_fp8_fp8 v[72:75], a[132:133], v[220:221], v[72:75]// 0000000047D8: D3F30048 0D23B984
	v_mfma_f32_16x16x32_fp8_fp8 v[72:75], a[134:135], v[222:223], v[72:75]// 0000000047E0: D3F30048 0D23BD86
	v_mfma_f32_16x16x32_fp8_fp8 v[72:75], a[136:137], v[224:225], v[72:75]// 0000000047E8: D3F30048 0D23C188
	v_mfma_f32_16x16x32_fp8_fp8 v[72:75], a[138:139], v[226:227], v[72:75]// 0000000047F0: D3F30048 0D23C58A
	buffer_load_dwordx4 a[20:23], v35, s[24:27], 0 offen offset:1024// 0000000047F8: E05C1400 80861423
	v_mfma_f32_16x16x32_fp8_fp8 v[72:75], a[140:141], v[228:229], v[72:75]// 000000004800: D3F30048 0D23C98C
	v_mfma_f32_16x16x32_fp8_fp8 v[72:75], a[142:143], v[230:231], v[72:75]// 000000004808: D3F30048 0D23CD8E
	v_mfma_f32_16x16x32_fp8_fp8 v[76:79], a[128:129], v[232:233], v[76:79]// 000000004810: D3F3004C 0D33D180
	v_mfma_f32_16x16x32_fp8_fp8 v[76:79], a[130:131], v[234:235], v[76:79]// 000000004818: D3F3004C 0D33D582
	buffer_load_dwordx4 a[24:27], v35, s[24:27], 0 offen offset:2048// 000000004820: E05C1800 80861823
	v_mfma_f32_16x16x32_fp8_fp8 v[76:79], a[132:133], v[236:237], v[76:79]// 000000004828: D3F3004C 0D33D984
	v_mfma_f32_16x16x32_fp8_fp8 v[76:79], a[134:135], v[238:239], v[76:79]// 000000004830: D3F3004C 0D33DD86
	v_mfma_f32_16x16x32_fp8_fp8 v[76:79], a[136:137], v[240:241], v[76:79]// 000000004838: D3F3004C 0D33E188
	v_mfma_f32_16x16x32_fp8_fp8 v[76:79], a[138:139], v[242:243], v[76:79]// 000000004840: D3F3004C 0D33E58A
	buffer_load_dwordx4 a[28:31], v35, s[24:27], 0 offen offset:3072// 000000004848: E05C1C00 80861C23
	v_mfma_f32_16x16x32_fp8_fp8 v[76:79], a[140:141], v[244:245], v[76:79]// 000000004850: D3F3004C 0D33E98C
	v_mfma_f32_16x16x32_fp8_fp8 v[76:79], a[142:143], v[246:247], v[76:79]// 000000004858: D3F3004C 0D33ED8E
	s_waitcnt vmcnt(24)                                        // 000000004860: BF8C4F78
	v_mfma_f32_16x16x32_fp8_fp8 v[80:83], a[144:145], v[216:217], v[80:83]// 000000004864: D3F30050 0D43B190
	v_mfma_f32_16x16x32_fp8_fp8 v[80:83], a[146:147], v[218:219], v[80:83]// 00000000486C: D3F30050 0D43B592
	buffer_load_dwordx4 a[32:35], v36, s[24:27], 0 offen       // 000000004874: E05C1000 80862024
	v_mfma_f32_16x16x32_fp8_fp8 v[80:83], a[148:149], v[220:221], v[80:83]// 00000000487C: D3F30050 0D43B994
	v_mfma_f32_16x16x32_fp8_fp8 v[80:83], a[150:151], v[222:223], v[80:83]// 000000004884: D3F30050 0D43BD96
	ds_read_b128 v[184:187], v2                                // 00000000488C: D9FE0000 B8000002
	v_mfma_f32_16x16x32_fp8_fp8 v[80:83], a[152:153], v[224:225], v[80:83]// 000000004894: D3F30050 0D43C198
	v_mfma_f32_16x16x32_fp8_fp8 v[80:83], a[154:155], v[226:227], v[80:83]// 00000000489C: D3F30050 0D43C59A
	buffer_load_dwordx4 a[36:39], v36, s[24:27], 0 offen offset:1024// 0000000048A4: E05C1400 80862424
	v_mfma_f32_16x16x32_fp8_fp8 v[80:83], a[156:157], v[228:229], v[80:83]// 0000000048AC: D3F30050 0D43C99C
	v_mfma_f32_16x16x32_fp8_fp8 v[80:83], a[158:159], v[230:231], v[80:83]// 0000000048B4: D3F30050 0D43CD9E
	ds_read_b128 v[188:191], v2 offset:64                      // 0000000048BC: D9FE0040 BC000002
	v_mfma_f32_16x16x32_fp8_fp8 v[84:87], a[144:145], v[232:233], v[84:87]// 0000000048C4: D3F30054 0D53D190
	v_mfma_f32_16x16x32_fp8_fp8 v[84:87], a[146:147], v[234:235], v[84:87]// 0000000048CC: D3F30054 0D53D592
	buffer_load_dwordx4 a[40:43], v36, s[24:27], 0 offen offset:2048// 0000000048D4: E05C1800 80862824
	v_mfma_f32_16x16x32_fp8_fp8 v[84:87], a[148:149], v[236:237], v[84:87]// 0000000048DC: D3F30054 0D53D994
	v_mfma_f32_16x16x32_fp8_fp8 v[84:87], a[150:151], v[238:239], v[84:87]// 0000000048E4: D3F30054 0D53DD96
	ds_read_b128 v[192:195], v2 offset:128                     // 0000000048EC: D9FE0080 C0000002
	v_mfma_f32_16x16x32_fp8_fp8 v[84:87], a[152:153], v[240:241], v[84:87]// 0000000048F4: D3F30054 0D53E198
	v_mfma_f32_16x16x32_fp8_fp8 v[84:87], a[154:155], v[242:243], v[84:87]// 0000000048FC: D3F30054 0D53E59A
	buffer_load_dwordx4 a[44:47], v36, s[24:27], 0 offen offset:3072// 000000004904: E05C1C00 80862C24
	v_mfma_f32_16x16x32_fp8_fp8 v[84:87], a[156:157], v[244:245], v[84:87]// 00000000490C: D3F30054 0D53E99C
	v_mfma_f32_16x16x32_fp8_fp8 v[84:87], a[158:159], v[246:247], v[84:87]// 000000004914: D3F30054 0D53ED9E
	ds_read_b128 v[196:199], v2 offset:192                     // 00000000491C: D9FE00C0 C4000002
	s_waitcnt vmcnt(24)                                        // 000000004924: BF8C4F78
	v_mfma_f32_16x16x32_fp8_fp8 v[88:91], a[160:161], v[216:217], v[88:91]// 000000004928: D3F30058 0D63B1A0
	v_mfma_f32_16x16x32_fp8_fp8 v[88:91], a[162:163], v[218:219], v[88:91]// 000000004930: D3F30058 0D63B5A2
	buffer_load_dwordx4 a[48:51], v37, s[24:27], 0 offen       // 000000004938: E05C1000 80863025
	v_mfma_f32_16x16x32_fp8_fp8 v[88:91], a[164:165], v[220:221], v[88:91]// 000000004940: D3F30058 0D63B9A4
	v_mfma_f32_16x16x32_fp8_fp8 v[88:91], a[166:167], v[222:223], v[88:91]// 000000004948: D3F30058 0D63BDA6
	ds_read_b128 v[200:203], v2 offset:1024                    // 000000004950: D9FE0400 C8000002
	v_mfma_f32_16x16x32_fp8_fp8 v[88:91], a[168:169], v[224:225], v[88:91]// 000000004958: D3F30058 0D63C1A8
	v_mfma_f32_16x16x32_fp8_fp8 v[88:91], a[170:171], v[226:227], v[88:91]// 000000004960: D3F30058 0D63C5AA
	buffer_load_dwordx4 a[52:55], v37, s[24:27], 0 offen offset:1024// 000000004968: E05C1400 80863425
	v_mfma_f32_16x16x32_fp8_fp8 v[88:91], a[172:173], v[228:229], v[88:91]// 000000004970: D3F30058 0D63C9AC
	v_mfma_f32_16x16x32_fp8_fp8 v[88:91], a[174:175], v[230:231], v[88:91]// 000000004978: D3F30058 0D63CDAE
	ds_read_b128 v[204:207], v2 offset:1088                    // 000000004980: D9FE0440 CC000002
	v_mfma_f32_16x16x32_fp8_fp8 v[92:95], a[160:161], v[232:233], v[92:95]// 000000004988: D3F3005C 0D73D1A0
	v_mfma_f32_16x16x32_fp8_fp8 v[92:95], a[162:163], v[234:235], v[92:95]// 000000004990: D3F3005C 0D73D5A2
	buffer_load_dwordx4 a[56:59], v37, s[24:27], 0 offen offset:2048// 000000004998: E05C1800 80863825
	v_mfma_f32_16x16x32_fp8_fp8 v[92:95], a[164:165], v[236:237], v[92:95]// 0000000049A0: D3F3005C 0D73D9A4
	v_mfma_f32_16x16x32_fp8_fp8 v[92:95], a[166:167], v[238:239], v[92:95]// 0000000049A8: D3F3005C 0D73DDA6
	ds_read_b128 v[208:211], v2 offset:1152                    // 0000000049B0: D9FE0480 D0000002
	v_mfma_f32_16x16x32_fp8_fp8 v[92:95], a[168:169], v[240:241], v[92:95]// 0000000049B8: D3F3005C 0D73E1A8
	v_mfma_f32_16x16x32_fp8_fp8 v[92:95], a[170:171], v[242:243], v[92:95]// 0000000049C0: D3F3005C 0D73E5AA
	buffer_load_dwordx4 a[60:63], v37, s[24:27], 0 offen offset:3072// 0000000049C8: E05C1C00 80863C25
	v_mfma_f32_16x16x32_fp8_fp8 v[92:95], a[172:173], v[244:245], v[92:95]// 0000000049D0: D3F3005C 0D73E9AC
	v_mfma_f32_16x16x32_fp8_fp8 v[92:95], a[174:175], v[246:247], v[92:95]// 0000000049D8: D3F3005C 0D73EDAE
	ds_read_b128 v[212:215], v2 offset:1216                    // 0000000049E0: D9FE04C0 D4000002
	s_waitcnt vmcnt(24)                                        // 0000000049E8: BF8C4F78
	v_mfma_f32_16x16x32_fp8_fp8 v[96:99], a[176:177], v[216:217], v[96:99]// 0000000049EC: D3F30060 0D83B1B0
	v_mfma_f32_16x16x32_fp8_fp8 v[96:99], a[178:179], v[218:219], v[96:99]// 0000000049F4: D3F30060 0D83B5B2
	buffer_load_dwordx4 a[64:67], v38, s[24:27], 0 offen       // 0000000049FC: E05C1000 80864026
	v_mfma_f32_16x16x32_fp8_fp8 v[96:99], a[180:181], v[220:221], v[96:99]// 000000004A04: D3F30060 0D83B9B4
	v_mfma_f32_16x16x32_fp8_fp8 v[96:99], a[182:183], v[222:223], v[96:99]// 000000004A0C: D3F30060 0D83BDB6
	v_mfma_f32_16x16x32_fp8_fp8 v[96:99], a[184:185], v[224:225], v[96:99]// 000000004A14: D3F30060 0D83C1B8
	v_mfma_f32_16x16x32_fp8_fp8 v[96:99], a[186:187], v[226:227], v[96:99]// 000000004A1C: D3F30060 0D83C5BA
	buffer_load_dwordx4 a[68:71], v38, s[24:27], 0 offen offset:1024// 000000004A24: E05C1400 80864426
	v_mfma_f32_16x16x32_fp8_fp8 v[96:99], a[188:189], v[228:229], v[96:99]// 000000004A2C: D3F30060 0D83C9BC
	v_mfma_f32_16x16x32_fp8_fp8 v[96:99], a[190:191], v[230:231], v[96:99]// 000000004A34: D3F30060 0D83CDBE
	v_mfma_f32_16x16x32_fp8_fp8 v[100:103], a[176:177], v[232:233], v[100:103]// 000000004A3C: D3F30064 0D93D1B0
	v_mfma_f32_16x16x32_fp8_fp8 v[100:103], a[178:179], v[234:235], v[100:103]// 000000004A44: D3F30064 0D93D5B2
	buffer_load_dwordx4 a[72:75], v38, s[24:27], 0 offen offset:2048// 000000004A4C: E05C1800 80864826
	v_mfma_f32_16x16x32_fp8_fp8 v[100:103], a[180:181], v[236:237], v[100:103]// 000000004A54: D3F30064 0D93D9B4
	v_mfma_f32_16x16x32_fp8_fp8 v[100:103], a[182:183], v[238:239], v[100:103]// 000000004A5C: D3F30064 0D93DDB6
	v_mfma_f32_16x16x32_fp8_fp8 v[100:103], a[184:185], v[240:241], v[100:103]// 000000004A64: D3F30064 0D93E1B8
	v_mfma_f32_16x16x32_fp8_fp8 v[100:103], a[186:187], v[242:243], v[100:103]// 000000004A6C: D3F30064 0D93E5BA
	buffer_load_dwordx4 a[76:79], v38, s[24:27], 0 offen offset:3072// 000000004A74: E05C1C00 80864C26
	v_mfma_f32_16x16x32_fp8_fp8 v[100:103], a[188:189], v[244:245], v[100:103]// 000000004A7C: D3F30064 0D93E9BC
	v_mfma_f32_16x16x32_fp8_fp8 v[100:103], a[190:191], v[246:247], v[100:103]// 000000004A84: D3F30064 0D93EDBE
	s_waitcnt vmcnt(24)                                        // 000000004A8C: BF8C4F78
	v_mfma_f32_16x16x32_fp8_fp8 v[104:107], a[192:193], v[216:217], v[104:107]// 000000004A90: D3F30068 0DA3B1C0
	v_mfma_f32_16x16x32_fp8_fp8 v[104:107], a[194:195], v[218:219], v[104:107]// 000000004A98: D3F30068 0DA3B5C2
	buffer_load_dwordx4 a[80:83], v39, s[24:27], 0 offen       // 000000004AA0: E05C1000 80865027
	v_mfma_f32_16x16x32_fp8_fp8 v[104:107], a[196:197], v[220:221], v[104:107]// 000000004AA8: D3F30068 0DA3B9C4
	v_mfma_f32_16x16x32_fp8_fp8 v[104:107], a[198:199], v[222:223], v[104:107]// 000000004AB0: D3F30068 0DA3BDC6
	v_mfma_f32_16x16x32_fp8_fp8 v[104:107], a[200:201], v[224:225], v[104:107]// 000000004AB8: D3F30068 0DA3C1C8
	v_mfma_f32_16x16x32_fp8_fp8 v[104:107], a[202:203], v[226:227], v[104:107]// 000000004AC0: D3F30068 0DA3C5CA
	buffer_load_dwordx4 a[84:87], v39, s[24:27], 0 offen offset:1024// 000000004AC8: E05C1400 80865427
	v_mfma_f32_16x16x32_fp8_fp8 v[104:107], a[204:205], v[228:229], v[104:107]// 000000004AD0: D3F30068 0DA3C9CC
	v_mfma_f32_16x16x32_fp8_fp8 v[104:107], a[206:207], v[230:231], v[104:107]// 000000004AD8: D3F30068 0DA3CDCE
	v_mfma_f32_16x16x32_fp8_fp8 v[108:111], a[192:193], v[232:233], v[108:111]// 000000004AE0: D3F3006C 0DB3D1C0
	v_mfma_f32_16x16x32_fp8_fp8 v[108:111], a[194:195], v[234:235], v[108:111]// 000000004AE8: D3F3006C 0DB3D5C2
	buffer_load_dwordx4 a[88:91], v39, s[24:27], 0 offen offset:2048// 000000004AF0: E05C1800 80865827
	v_mfma_f32_16x16x32_fp8_fp8 v[108:111], a[196:197], v[236:237], v[108:111]// 000000004AF8: D3F3006C 0DB3D9C4
	v_mfma_f32_16x16x32_fp8_fp8 v[108:111], a[198:199], v[238:239], v[108:111]// 000000004B00: D3F3006C 0DB3DDC6
	v_mfma_f32_16x16x32_fp8_fp8 v[108:111], a[200:201], v[240:241], v[108:111]// 000000004B08: D3F3006C 0DB3E1C8
	v_mfma_f32_16x16x32_fp8_fp8 v[108:111], a[202:203], v[242:243], v[108:111]// 000000004B10: D3F3006C 0DB3E5CA
	buffer_load_dwordx4 a[92:95], v39, s[24:27], 0 offen offset:3072// 000000004B18: E05C1C00 80865C27
	v_mfma_f32_16x16x32_fp8_fp8 v[108:111], a[204:205], v[244:245], v[108:111]// 000000004B20: D3F3006C 0DB3E9CC
	v_mfma_f32_16x16x32_fp8_fp8 v[108:111], a[206:207], v[246:247], v[108:111]// 000000004B28: D3F3006C 0DB3EDCE
	s_waitcnt vmcnt(24)                                        // 000000004B30: BF8C4F78
	v_mfma_f32_16x16x32_fp8_fp8 v[112:115], a[208:209], v[216:217], v[112:115]// 000000004B34: D3F30070 0DC3B1D0
	v_mfma_f32_16x16x32_fp8_fp8 v[112:115], a[210:211], v[218:219], v[112:115]// 000000004B3C: D3F30070 0DC3B5D2
	buffer_load_dwordx4 a[96:99], v40, s[24:27], 0 offen       // 000000004B44: E05C1000 80866028
	v_mfma_f32_16x16x32_fp8_fp8 v[112:115], a[212:213], v[220:221], v[112:115]// 000000004B4C: D3F30070 0DC3B9D4
	v_mfma_f32_16x16x32_fp8_fp8 v[112:115], a[214:215], v[222:223], v[112:115]// 000000004B54: D3F30070 0DC3BDD6
	v_mfma_f32_16x16x32_fp8_fp8 v[112:115], a[216:217], v[224:225], v[112:115]// 000000004B5C: D3F30070 0DC3C1D8
	v_mfma_f32_16x16x32_fp8_fp8 v[112:115], a[218:219], v[226:227], v[112:115]// 000000004B64: D3F30070 0DC3C5DA
	buffer_load_dwordx4 a[100:103], v40, s[24:27], 0 offen offset:1024// 000000004B6C: E05C1400 80866428
	v_mfma_f32_16x16x32_fp8_fp8 v[112:115], a[220:221], v[228:229], v[112:115]// 000000004B74: D3F30070 0DC3C9DC
	v_mfma_f32_16x16x32_fp8_fp8 v[112:115], a[222:223], v[230:231], v[112:115]// 000000004B7C: D3F30070 0DC3CDDE
	v_mfma_f32_16x16x32_fp8_fp8 v[116:119], a[208:209], v[232:233], v[116:119]// 000000004B84: D3F30074 0DD3D1D0
	v_mfma_f32_16x16x32_fp8_fp8 v[116:119], a[210:211], v[234:235], v[116:119]// 000000004B8C: D3F30074 0DD3D5D2
	buffer_load_dwordx4 a[104:107], v40, s[24:27], 0 offen offset:2048// 000000004B94: E05C1800 80866828
	v_mfma_f32_16x16x32_fp8_fp8 v[116:119], a[212:213], v[236:237], v[116:119]// 000000004B9C: D3F30074 0DD3D9D4
	v_mfma_f32_16x16x32_fp8_fp8 v[116:119], a[214:215], v[238:239], v[116:119]// 000000004BA4: D3F30074 0DD3DDD6
	v_mfma_f32_16x16x32_fp8_fp8 v[116:119], a[216:217], v[240:241], v[116:119]// 000000004BAC: D3F30074 0DD3E1D8
	v_mfma_f32_16x16x32_fp8_fp8 v[116:119], a[218:219], v[242:243], v[116:119]// 000000004BB4: D3F30074 0DD3E5DA
	buffer_load_dwordx4 a[108:111], v40, s[24:27], 0 offen offset:3072// 000000004BBC: E05C1C00 80866C28
	v_mfma_f32_16x16x32_fp8_fp8 v[116:119], a[220:221], v[244:245], v[116:119]// 000000004BC4: D3F30074 0DD3E9DC
	v_mfma_f32_16x16x32_fp8_fp8 v[116:119], a[222:223], v[246:247], v[116:119]// 000000004BCC: D3F30074 0DD3EDDE
	s_add_u32 s60, 0x200, s80                                  // 000000004BD4: 803C50FF 00000200
	s_cmp_lt_u32 s60, s81                                      // 000000004BDC: BF0A513C
	s_cselect_b32 s57, s57, 0                                  // 000000004BE0: 85398039
	s_add_u32 s60, 0x200, s80                                  // 000000004BE4: 803C50FF 00000200
	s_cmp_lt_u32 s60, s81                                      // 000000004BEC: BF0A513C
	s_cselect_b32 s58, s58, 0                                  // 000000004BF0: 853A803A
	s_add_u32 s20, s57, s20                                    // 000000004BF4: 80141439
	s_addc_u32 s21, 0, s21                                     // 000000004BF8: 82151580
	s_add_u32 s24, s58, s24                                    // 000000004BFC: 8018183A
	s_addc_u32 s25, 0, s25                                     // 000000004C00: 82191980
	s_add_u32 s92, s90, s92                                    // 000000004C04: 805C5C5A
	s_addc_u32 s93, 0, s93                                     // 000000004C08: 825D5D80
	s_addk_i32 s80, 0x100                                      // 000000004C0C: B7500100
	s_cmp_lt_i32 s80, s81                                      // 000000004C10: BF045150
	s_cbranch_scc0 label_0787                                  // 000000004C14: BF840001
	s_branch label_028A                                        // 000000004C18: BF82FB03

0000000000004c1c <label_0787>:
	s_mov_b32 s20, 0                                           // 000000004C1C: BE940080
	s_cmp_lt_u32 s89, s66                                      // 000000004C20: BF0A4259
	s_cselect_b32 s60, 0, 1                                    // 000000004C24: 853C8180
	s_lshl1_add_u32 s20, s20, s60                              // 000000004C28: 97143C14
	s_cmp_lt_u32 s88, s66                                      // 000000004C2C: BF0A4258
	s_cselect_b32 s60, 0, 1                                    // 000000004C30: 853C8180
	s_lshl1_add_u32 s20, s20, s60                              // 000000004C34: 97143C14
	s_cmp_lt_u32 s87, s66                                      // 000000004C38: BF0A4257
	s_cselect_b32 s60, 0, 1                                    // 000000004C3C: 853C8180
	s_lshl1_add_u32 s20, s20, s60                              // 000000004C40: 97143C14
	s_cmp_lt_u32 s86, s66                                      // 000000004C44: BF0A4256
	s_cselect_b32 s60, 0, 1                                    // 000000004C48: 853C8180
	s_lshl1_add_u32 s20, s20, s60                              // 000000004C4C: 97143C14
	s_cmp_lt_u32 s85, s66                                      // 000000004C50: BF0A4255
	s_cselect_b32 s60, 0, 1                                    // 000000004C54: 853C8180
	s_lshl1_add_u32 s20, s20, s60                              // 000000004C58: 97143C14
	s_cmp_lt_u32 s84, s66                                      // 000000004C5C: BF0A4254
	s_cselect_b32 s60, 0, 1                                    // 000000004C60: 853C8180
	s_lshl1_add_u32 s20, s20, s60                              // 000000004C64: 97143C14
	s_cmp_lt_u32 s83, s66                                      // 000000004C68: BF0A4253
	s_cselect_b32 s60, 0, 1                                    // 000000004C6C: 853C8180
	s_lshl1_add_u32 s20, s20, s60                              // 000000004C70: 97143C14
	s_cmp_lt_u32 s82, s66                                      // 000000004C74: BF0A4252
	s_cselect_b32 s60, 0, 1                                    // 000000004C78: 853C8180
	s_lshl1_add_u32 s20, s20, s60                              // 000000004C7C: 97143C14
	v_mul_f32_e32 v128, v14, v128                              // 000000004C80: 0B01010E
	v_mul_f32_e32 v129, v14, v129                              // 000000004C84: 0B03030E
	v_mul_f32_e32 v130, v14, v130                              // 000000004C88: 0B05050E
	v_mul_f32_e32 v131, v14, v131                              // 000000004C8C: 0B07070E
	v_mul_f32_dpp v128, v16, v128 row_newbcast:0 row_mask:0xf bank_mask:0xf// 000000004C90: 0B0100FA FF015010
	v_mul_f32_dpp v129, v16, v129 row_newbcast:1 row_mask:0xf bank_mask:0xf// 000000004C98: 0B0302FA FF015110
	v_mul_f32_dpp v130, v16, v130 row_newbcast:2 row_mask:0xf bank_mask:0xf// 000000004CA0: 0B0504FA FF015210
	v_mul_f32_dpp v131, v16, v131 row_newbcast:3 row_mask:0xf bank_mask:0xf// 000000004CA8: 0B0706FA FF015310
	v_mul_f32_e32 v132, v15, v132                              // 000000004CB0: 0B09090F
	v_mul_f32_e32 v133, v15, v133                              // 000000004CB4: 0B0B0B0F
	v_mul_f32_e32 v134, v15, v134                              // 000000004CB8: 0B0D0D0F
	v_mul_f32_e32 v135, v15, v135                              // 000000004CBC: 0B0F0F0F
	v_mul_f32_dpp v132, v16, v132 row_newbcast:0 row_mask:0xf bank_mask:0xf// 000000004CC0: 0B0908FA FF015010
	v_mul_f32_dpp v133, v16, v133 row_newbcast:1 row_mask:0xf bank_mask:0xf// 000000004CC8: 0B0B0AFA FF015110
	v_mul_f32_dpp v134, v16, v134 row_newbcast:2 row_mask:0xf bank_mask:0xf// 000000004CD0: 0B0D0CFA FF015210
	v_mul_f32_dpp v135, v16, v135 row_newbcast:3 row_mask:0xf bank_mask:0xf// 000000004CD8: 0B0F0EFA FF015310
	v_mul_f32_e32 v136, v14, v136                              // 000000004CE0: 0B11110E
	v_mul_f32_e32 v137, v14, v137                              // 000000004CE4: 0B13130E
	v_mul_f32_e32 v138, v14, v138                              // 000000004CE8: 0B15150E
	v_mul_f32_e32 v139, v14, v139                              // 000000004CEC: 0B17170E
	v_mul_f32_dpp v136, v16, v136 row_newbcast:4 row_mask:0xf bank_mask:0xf// 000000004CF0: 0B1110FA FF015410
	v_mul_f32_dpp v137, v16, v137 row_newbcast:5 row_mask:0xf bank_mask:0xf// 000000004CF8: 0B1312FA FF015510
	v_mul_f32_dpp v138, v16, v138 row_newbcast:6 row_mask:0xf bank_mask:0xf// 000000004D00: 0B1514FA FF015610
	v_mul_f32_dpp v139, v16, v139 row_newbcast:7 row_mask:0xf bank_mask:0xf// 000000004D08: 0B1716FA FF015710
	v_mul_f32_e32 v140, v15, v140                              // 000000004D10: 0B19190F
	v_mul_f32_e32 v141, v15, v141                              // 000000004D14: 0B1B1B0F
	v_mul_f32_e32 v142, v15, v142                              // 000000004D18: 0B1D1D0F
	v_mul_f32_e32 v143, v15, v143                              // 000000004D1C: 0B1F1F0F
	v_mul_f32_dpp v140, v16, v140 row_newbcast:4 row_mask:0xf bank_mask:0xf// 000000004D20: 0B1918FA FF015410
	v_mul_f32_dpp v141, v16, v141 row_newbcast:5 row_mask:0xf bank_mask:0xf// 000000004D28: 0B1B1AFA FF015510
	v_mul_f32_dpp v142, v16, v142 row_newbcast:6 row_mask:0xf bank_mask:0xf// 000000004D30: 0B1D1CFA FF015610
	v_mul_f32_dpp v143, v16, v143 row_newbcast:7 row_mask:0xf bank_mask:0xf// 000000004D38: 0B1F1EFA FF015710
	v_mul_f32_e32 v144, v14, v144                              // 000000004D40: 0B21210E
	v_mul_f32_e32 v145, v14, v145                              // 000000004D44: 0B23230E
	v_mul_f32_e32 v146, v14, v146                              // 000000004D48: 0B25250E
	v_mul_f32_e32 v147, v14, v147                              // 000000004D4C: 0B27270E
	v_mul_f32_dpp v144, v16, v144 row_newbcast:8 row_mask:0xf bank_mask:0xf// 000000004D50: 0B2120FA FF015810
	v_mul_f32_dpp v145, v16, v145 row_newbcast:9 row_mask:0xf bank_mask:0xf// 000000004D58: 0B2322FA FF015910
	v_mul_f32_dpp v146, v16, v146 row_newbcast:10 row_mask:0xf bank_mask:0xf// 000000004D60: 0B2524FA FF015A10
	v_mul_f32_dpp v147, v16, v147 row_newbcast:11 row_mask:0xf bank_mask:0xf// 000000004D68: 0B2726FA FF015B10
	v_mul_f32_e32 v148, v15, v148                              // 000000004D70: 0B29290F
	v_mul_f32_e32 v149, v15, v149                              // 000000004D74: 0B2B2B0F
	v_mul_f32_e32 v150, v15, v150                              // 000000004D78: 0B2D2D0F
	v_mul_f32_e32 v151, v15, v151                              // 000000004D7C: 0B2F2F0F
	v_mul_f32_dpp v148, v16, v148 row_newbcast:8 row_mask:0xf bank_mask:0xf// 000000004D80: 0B2928FA FF015810
	v_mul_f32_dpp v149, v16, v149 row_newbcast:9 row_mask:0xf bank_mask:0xf// 000000004D88: 0B2B2AFA FF015910
	v_mul_f32_dpp v150, v16, v150 row_newbcast:10 row_mask:0xf bank_mask:0xf// 000000004D90: 0B2D2CFA FF015A10
	v_mul_f32_dpp v151, v16, v151 row_newbcast:11 row_mask:0xf bank_mask:0xf// 000000004D98: 0B2F2EFA FF015B10
	v_mul_f32_e32 v152, v14, v152                              // 000000004DA0: 0B31310E
	v_mul_f32_e32 v153, v14, v153                              // 000000004DA4: 0B33330E
	v_mul_f32_e32 v154, v14, v154                              // 000000004DA8: 0B35350E
	v_mul_f32_e32 v155, v14, v155                              // 000000004DAC: 0B37370E
	v_mul_f32_dpp v152, v16, v152 row_newbcast:12 row_mask:0xf bank_mask:0xf// 000000004DB0: 0B3130FA FF015C10
	v_mul_f32_dpp v153, v16, v153 row_newbcast:13 row_mask:0xf bank_mask:0xf// 000000004DB8: 0B3332FA FF015D10
	v_mul_f32_dpp v154, v16, v154 row_newbcast:14 row_mask:0xf bank_mask:0xf// 000000004DC0: 0B3534FA FF015E10
	v_mul_f32_dpp v155, v16, v155 row_newbcast:15 row_mask:0xf bank_mask:0xf// 000000004DC8: 0B3736FA FF015F10
	v_mul_f32_e32 v156, v15, v156                              // 000000004DD0: 0B39390F
	v_mul_f32_e32 v157, v15, v157                              // 000000004DD4: 0B3B3B0F
	v_mul_f32_e32 v158, v15, v158                              // 000000004DD8: 0B3D3D0F
	v_mul_f32_e32 v159, v15, v159                              // 000000004DDC: 0B3F3F0F
	v_mul_f32_dpp v156, v16, v156 row_newbcast:12 row_mask:0xf bank_mask:0xf// 000000004DE0: 0B3938FA FF015C10
	v_mul_f32_dpp v157, v16, v157 row_newbcast:13 row_mask:0xf bank_mask:0xf// 000000004DE8: 0B3B3AFA FF015D10
	v_mul_f32_dpp v158, v16, v158 row_newbcast:14 row_mask:0xf bank_mask:0xf// 000000004DF0: 0B3D3CFA FF015E10
	v_mul_f32_dpp v159, v16, v159 row_newbcast:15 row_mask:0xf bank_mask:0xf// 000000004DF8: 0B3F3EFA FF015F10
	v_mul_f32_e32 v160, v14, v160                              // 000000004E00: 0B41410E
	v_mul_f32_e32 v161, v14, v161                              // 000000004E04: 0B43430E
	v_mul_f32_e32 v162, v14, v162                              // 000000004E08: 0B45450E
	v_mul_f32_e32 v163, v14, v163                              // 000000004E0C: 0B47470E
	v_mul_f32_dpp v160, v17, v160 row_newbcast:0 row_mask:0xf bank_mask:0xf// 000000004E10: 0B4140FA FF015011
	v_mul_f32_dpp v161, v17, v161 row_newbcast:1 row_mask:0xf bank_mask:0xf// 000000004E18: 0B4342FA FF015111
	v_mul_f32_dpp v162, v17, v162 row_newbcast:2 row_mask:0xf bank_mask:0xf// 000000004E20: 0B4544FA FF015211
	v_mul_f32_dpp v163, v17, v163 row_newbcast:3 row_mask:0xf bank_mask:0xf// 000000004E28: 0B4746FA FF015311
	v_mul_f32_e32 v164, v15, v164                              // 000000004E30: 0B49490F
	v_mul_f32_e32 v165, v15, v165                              // 000000004E34: 0B4B4B0F
	v_mul_f32_e32 v166, v15, v166                              // 000000004E38: 0B4D4D0F
	v_mul_f32_e32 v167, v15, v167                              // 000000004E3C: 0B4F4F0F
	v_mul_f32_dpp v164, v17, v164 row_newbcast:0 row_mask:0xf bank_mask:0xf// 000000004E40: 0B4948FA FF015011
	v_mul_f32_dpp v165, v17, v165 row_newbcast:1 row_mask:0xf bank_mask:0xf// 000000004E48: 0B4B4AFA FF015111
	v_mul_f32_dpp v166, v17, v166 row_newbcast:2 row_mask:0xf bank_mask:0xf// 000000004E50: 0B4D4CFA FF015211
	v_mul_f32_dpp v167, v17, v167 row_newbcast:3 row_mask:0xf bank_mask:0xf// 000000004E58: 0B4F4EFA FF015311
	v_mul_f32_e32 v168, v14, v168                              // 000000004E60: 0B51510E
	v_mul_f32_e32 v169, v14, v169                              // 000000004E64: 0B53530E
	v_mul_f32_e32 v170, v14, v170                              // 000000004E68: 0B55550E
	v_mul_f32_e32 v171, v14, v171                              // 000000004E6C: 0B57570E
	v_mul_f32_dpp v168, v17, v168 row_newbcast:4 row_mask:0xf bank_mask:0xf// 000000004E70: 0B5150FA FF015411
	v_mul_f32_dpp v169, v17, v169 row_newbcast:5 row_mask:0xf bank_mask:0xf// 000000004E78: 0B5352FA FF015511
	v_mul_f32_dpp v170, v17, v170 row_newbcast:6 row_mask:0xf bank_mask:0xf// 000000004E80: 0B5554FA FF015611
	v_mul_f32_dpp v171, v17, v171 row_newbcast:7 row_mask:0xf bank_mask:0xf// 000000004E88: 0B5756FA FF015711
	v_mul_f32_e32 v172, v15, v172                              // 000000004E90: 0B59590F
	v_mul_f32_e32 v173, v15, v173                              // 000000004E94: 0B5B5B0F
	v_mul_f32_e32 v174, v15, v174                              // 000000004E98: 0B5D5D0F
	v_mul_f32_e32 v175, v15, v175                              // 000000004E9C: 0B5F5F0F
	v_mul_f32_dpp v172, v17, v172 row_newbcast:4 row_mask:0xf bank_mask:0xf// 000000004EA0: 0B5958FA FF015411
	v_mul_f32_dpp v173, v17, v173 row_newbcast:5 row_mask:0xf bank_mask:0xf// 000000004EA8: 0B5B5AFA FF015511
	v_mul_f32_dpp v174, v17, v174 row_newbcast:6 row_mask:0xf bank_mask:0xf// 000000004EB0: 0B5D5CFA FF015611
	v_mul_f32_dpp v175, v17, v175 row_newbcast:7 row_mask:0xf bank_mask:0xf// 000000004EB8: 0B5F5EFA FF015711
	v_mul_f32_e32 v176, v14, v176                              // 000000004EC0: 0B61610E
	v_mul_f32_e32 v177, v14, v177                              // 000000004EC4: 0B63630E
	v_mul_f32_e32 v178, v14, v178                              // 000000004EC8: 0B65650E
	v_mul_f32_e32 v179, v14, v179                              // 000000004ECC: 0B67670E
	v_mul_f32_dpp v176, v17, v176 row_newbcast:8 row_mask:0xf bank_mask:0xf// 000000004ED0: 0B6160FA FF015811
	v_mul_f32_dpp v177, v17, v177 row_newbcast:9 row_mask:0xf bank_mask:0xf// 000000004ED8: 0B6362FA FF015911
	v_mul_f32_dpp v178, v17, v178 row_newbcast:10 row_mask:0xf bank_mask:0xf// 000000004EE0: 0B6564FA FF015A11
	v_mul_f32_dpp v179, v17, v179 row_newbcast:11 row_mask:0xf bank_mask:0xf// 000000004EE8: 0B6766FA FF015B11
	v_mul_f32_e32 v180, v15, v180                              // 000000004EF0: 0B69690F
	v_mul_f32_e32 v181, v15, v181                              // 000000004EF4: 0B6B6B0F
	v_mul_f32_e32 v182, v15, v182                              // 000000004EF8: 0B6D6D0F
	v_mul_f32_e32 v183, v15, v183                              // 000000004EFC: 0B6F6F0F
	v_mul_f32_dpp v180, v17, v180 row_newbcast:8 row_mask:0xf bank_mask:0xf// 000000004F00: 0B6968FA FF015811
	v_mul_f32_dpp v181, v17, v181 row_newbcast:9 row_mask:0xf bank_mask:0xf// 000000004F08: 0B6B6AFA FF015911
	v_mul_f32_dpp v182, v17, v182 row_newbcast:10 row_mask:0xf bank_mask:0xf// 000000004F10: 0B6D6CFA FF015A11
	v_mul_f32_dpp v183, v17, v183 row_newbcast:11 row_mask:0xf bank_mask:0xf// 000000004F18: 0B6F6EFA FF015B11
	v_mul_f32_e32 v64, v14, v64                                // 000000004F20: 0A80810E
	v_mul_f32_e32 v65, v14, v65                                // 000000004F24: 0A82830E
	v_mul_f32_e32 v66, v14, v66                                // 000000004F28: 0A84850E
	v_mul_f32_e32 v67, v14, v67                                // 000000004F2C: 0A86870E
	v_mul_f32_dpp v64, v49, v64 row_newbcast:0 row_mask:0xf bank_mask:0xf// 000000004F30: 0A8080FA FF015031
	v_mul_f32_dpp v65, v49, v65 row_newbcast:1 row_mask:0xf bank_mask:0xf// 000000004F38: 0A8282FA FF015131
	v_mul_f32_dpp v66, v49, v66 row_newbcast:2 row_mask:0xf bank_mask:0xf// 000000004F40: 0A8484FA FF015231
	v_mul_f32_dpp v67, v49, v67 row_newbcast:3 row_mask:0xf bank_mask:0xf// 000000004F48: 0A8686FA FF015331
	v_mul_f32_e32 v68, v15, v68                                // 000000004F50: 0A88890F
	v_mul_f32_e32 v69, v15, v69                                // 000000004F54: 0A8A8B0F
	v_mul_f32_e32 v70, v15, v70                                // 000000004F58: 0A8C8D0F
	v_mul_f32_e32 v71, v15, v71                                // 000000004F5C: 0A8E8F0F
	v_mul_f32_dpp v68, v49, v68 row_newbcast:0 row_mask:0xf bank_mask:0xf// 000000004F60: 0A8888FA FF015031
	v_mul_f32_dpp v69, v49, v69 row_newbcast:1 row_mask:0xf bank_mask:0xf// 000000004F68: 0A8A8AFA FF015131
	v_mul_f32_dpp v70, v49, v70 row_newbcast:2 row_mask:0xf bank_mask:0xf// 000000004F70: 0A8C8CFA FF015231
	v_mul_f32_dpp v71, v49, v71 row_newbcast:3 row_mask:0xf bank_mask:0xf// 000000004F78: 0A8E8EFA FF015331
	v_mul_f32_e32 v72, v14, v72                                // 000000004F80: 0A90910E
	v_mul_f32_e32 v73, v14, v73                                // 000000004F84: 0A92930E
	v_mul_f32_e32 v74, v14, v74                                // 000000004F88: 0A94950E
	v_mul_f32_e32 v75, v14, v75                                // 000000004F8C: 0A96970E
	v_mul_f32_dpp v72, v49, v72 row_newbcast:4 row_mask:0xf bank_mask:0xf// 000000004F90: 0A9090FA FF015431
	v_mul_f32_dpp v73, v49, v73 row_newbcast:5 row_mask:0xf bank_mask:0xf// 000000004F98: 0A9292FA FF015531
	v_mul_f32_dpp v74, v49, v74 row_newbcast:6 row_mask:0xf bank_mask:0xf// 000000004FA0: 0A9494FA FF015631
	v_mul_f32_dpp v75, v49, v75 row_newbcast:7 row_mask:0xf bank_mask:0xf// 000000004FA8: 0A9696FA FF015731
	v_mul_f32_e32 v76, v15, v76                                // 000000004FB0: 0A98990F
	v_mul_f32_e32 v77, v15, v77                                // 000000004FB4: 0A9A9B0F
	v_mul_f32_e32 v78, v15, v78                                // 000000004FB8: 0A9C9D0F
	v_mul_f32_e32 v79, v15, v79                                // 000000004FBC: 0A9E9F0F
	v_mul_f32_dpp v76, v49, v76 row_newbcast:4 row_mask:0xf bank_mask:0xf// 000000004FC0: 0A9898FA FF015431
	v_mul_f32_dpp v77, v49, v77 row_newbcast:5 row_mask:0xf bank_mask:0xf// 000000004FC8: 0A9A9AFA FF015531
	v_mul_f32_dpp v78, v49, v78 row_newbcast:6 row_mask:0xf bank_mask:0xf// 000000004FD0: 0A9C9CFA FF015631
	v_mul_f32_dpp v79, v49, v79 row_newbcast:7 row_mask:0xf bank_mask:0xf// 000000004FD8: 0A9E9EFA FF015731
	v_mul_f32_e32 v80, v14, v80                                // 000000004FE0: 0AA0A10E
	v_mul_f32_e32 v81, v14, v81                                // 000000004FE4: 0AA2A30E
	v_mul_f32_e32 v82, v14, v82                                // 000000004FE8: 0AA4A50E
	v_mul_f32_e32 v83, v14, v83                                // 000000004FEC: 0AA6A70E
	v_mul_f32_dpp v80, v49, v80 row_newbcast:8 row_mask:0xf bank_mask:0xf// 000000004FF0: 0AA0A0FA FF015831
	v_mul_f32_dpp v81, v49, v81 row_newbcast:9 row_mask:0xf bank_mask:0xf// 000000004FF8: 0AA2A2FA FF015931
	v_mul_f32_dpp v82, v49, v82 row_newbcast:10 row_mask:0xf bank_mask:0xf// 000000005000: 0AA4A4FA FF015A31
	v_mul_f32_dpp v83, v49, v83 row_newbcast:11 row_mask:0xf bank_mask:0xf// 000000005008: 0AA6A6FA FF015B31
	v_mul_f32_e32 v84, v15, v84                                // 000000005010: 0AA8A90F
	v_mul_f32_e32 v85, v15, v85                                // 000000005014: 0AAAAB0F
	v_mul_f32_e32 v86, v15, v86                                // 000000005018: 0AACAD0F
	v_mul_f32_e32 v87, v15, v87                                // 00000000501C: 0AAEAF0F
	v_mul_f32_dpp v84, v49, v84 row_newbcast:8 row_mask:0xf bank_mask:0xf// 000000005020: 0AA8A8FA FF015831
	v_mul_f32_dpp v85, v49, v85 row_newbcast:9 row_mask:0xf bank_mask:0xf// 000000005028: 0AAAAAFA FF015931
	v_mul_f32_dpp v86, v49, v86 row_newbcast:10 row_mask:0xf bank_mask:0xf// 000000005030: 0AACACFA FF015A31
	v_mul_f32_dpp v87, v49, v87 row_newbcast:11 row_mask:0xf bank_mask:0xf// 000000005038: 0AAEAEFA FF015B31
	v_mul_f32_e32 v88, v14, v88                                // 000000005040: 0AB0B10E
	v_mul_f32_e32 v89, v14, v89                                // 000000005044: 0AB2B30E
	v_mul_f32_e32 v90, v14, v90                                // 000000005048: 0AB4B50E
	v_mul_f32_e32 v91, v14, v91                                // 00000000504C: 0AB6B70E
	v_mul_f32_dpp v88, v49, v88 row_newbcast:12 row_mask:0xf bank_mask:0xf// 000000005050: 0AB0B0FA FF015C31
	v_mul_f32_dpp v89, v49, v89 row_newbcast:13 row_mask:0xf bank_mask:0xf// 000000005058: 0AB2B2FA FF015D31
	v_mul_f32_dpp v90, v49, v90 row_newbcast:14 row_mask:0xf bank_mask:0xf// 000000005060: 0AB4B4FA FF015E31
	v_mul_f32_dpp v91, v49, v91 row_newbcast:15 row_mask:0xf bank_mask:0xf// 000000005068: 0AB6B6FA FF015F31
	v_mul_f32_e32 v92, v15, v92                                // 000000005070: 0AB8B90F
	v_mul_f32_e32 v93, v15, v93                                // 000000005074: 0ABABB0F
	v_mul_f32_e32 v94, v15, v94                                // 000000005078: 0ABCBD0F
	v_mul_f32_e32 v95, v15, v95                                // 00000000507C: 0ABEBF0F
	v_mul_f32_dpp v92, v49, v92 row_newbcast:12 row_mask:0xf bank_mask:0xf// 000000005080: 0AB8B8FA FF015C31
	v_mul_f32_dpp v93, v49, v93 row_newbcast:13 row_mask:0xf bank_mask:0xf// 000000005088: 0ABABAFA FF015D31
	v_mul_f32_dpp v94, v49, v94 row_newbcast:14 row_mask:0xf bank_mask:0xf// 000000005090: 0ABCBCFA FF015E31
	v_mul_f32_dpp v95, v49, v95 row_newbcast:15 row_mask:0xf bank_mask:0xf// 000000005098: 0ABEBEFA FF015F31
	v_mul_f32_e32 v96, v14, v96                                // 0000000050A0: 0AC0C10E
	v_mul_f32_e32 v97, v14, v97                                // 0000000050A4: 0AC2C30E
	v_mul_f32_e32 v98, v14, v98                                // 0000000050A8: 0AC4C50E
	v_mul_f32_e32 v99, v14, v99                                // 0000000050AC: 0AC6C70E
	v_mul_f32_dpp v96, v50, v96 row_newbcast:0 row_mask:0xf bank_mask:0xf// 0000000050B0: 0AC0C0FA FF015032
	v_mul_f32_dpp v97, v50, v97 row_newbcast:1 row_mask:0xf bank_mask:0xf// 0000000050B8: 0AC2C2FA FF015132
	v_mul_f32_dpp v98, v50, v98 row_newbcast:2 row_mask:0xf bank_mask:0xf// 0000000050C0: 0AC4C4FA FF015232
	v_mul_f32_dpp v99, v50, v99 row_newbcast:3 row_mask:0xf bank_mask:0xf// 0000000050C8: 0AC6C6FA FF015332
	v_mul_f32_e32 v100, v15, v100                              // 0000000050D0: 0AC8C90F
	v_mul_f32_e32 v101, v15, v101                              // 0000000050D4: 0ACACB0F
	v_mul_f32_e32 v102, v15, v102                              // 0000000050D8: 0ACCCD0F
	v_mul_f32_e32 v103, v15, v103                              // 0000000050DC: 0ACECF0F
	v_mul_f32_dpp v100, v50, v100 row_newbcast:0 row_mask:0xf bank_mask:0xf// 0000000050E0: 0AC8C8FA FF015032
	v_mul_f32_dpp v101, v50, v101 row_newbcast:1 row_mask:0xf bank_mask:0xf// 0000000050E8: 0ACACAFA FF015132
	v_mul_f32_dpp v102, v50, v102 row_newbcast:2 row_mask:0xf bank_mask:0xf// 0000000050F0: 0ACCCCFA FF015232
	v_mul_f32_dpp v103, v50, v103 row_newbcast:3 row_mask:0xf bank_mask:0xf// 0000000050F8: 0ACECEFA FF015332
	v_mul_f32_e32 v104, v14, v104                              // 000000005100: 0AD0D10E
	v_mul_f32_e32 v105, v14, v105                              // 000000005104: 0AD2D30E
	v_mul_f32_e32 v106, v14, v106                              // 000000005108: 0AD4D50E
	v_mul_f32_e32 v107, v14, v107                              // 00000000510C: 0AD6D70E
	v_mul_f32_dpp v104, v50, v104 row_newbcast:4 row_mask:0xf bank_mask:0xf// 000000005110: 0AD0D0FA FF015432
	v_mul_f32_dpp v105, v50, v105 row_newbcast:5 row_mask:0xf bank_mask:0xf// 000000005118: 0AD2D2FA FF015532
	v_mul_f32_dpp v106, v50, v106 row_newbcast:6 row_mask:0xf bank_mask:0xf// 000000005120: 0AD4D4FA FF015632
	v_mul_f32_dpp v107, v50, v107 row_newbcast:7 row_mask:0xf bank_mask:0xf// 000000005128: 0AD6D6FA FF015732
	v_mul_f32_e32 v108, v15, v108                              // 000000005130: 0AD8D90F
	v_mul_f32_e32 v109, v15, v109                              // 000000005134: 0ADADB0F
	v_mul_f32_e32 v110, v15, v110                              // 000000005138: 0ADCDD0F
	v_mul_f32_e32 v111, v15, v111                              // 00000000513C: 0ADEDF0F
	v_mul_f32_dpp v108, v50, v108 row_newbcast:4 row_mask:0xf bank_mask:0xf// 000000005140: 0AD8D8FA FF015432
	v_mul_f32_dpp v109, v50, v109 row_newbcast:5 row_mask:0xf bank_mask:0xf// 000000005148: 0ADADAFA FF015532
	v_mul_f32_dpp v110, v50, v110 row_newbcast:6 row_mask:0xf bank_mask:0xf// 000000005150: 0ADCDCFA FF015632
	v_mul_f32_dpp v111, v50, v111 row_newbcast:7 row_mask:0xf bank_mask:0xf// 000000005158: 0ADEDEFA FF015732
	v_mul_f32_e32 v112, v14, v112                              // 000000005160: 0AE0E10E
	v_mul_f32_e32 v113, v14, v113                              // 000000005164: 0AE2E30E
	v_mul_f32_e32 v114, v14, v114                              // 000000005168: 0AE4E50E
	v_mul_f32_e32 v115, v14, v115                              // 00000000516C: 0AE6E70E
	v_mul_f32_dpp v112, v50, v112 row_newbcast:8 row_mask:0xf bank_mask:0xf// 000000005170: 0AE0E0FA FF015832
	v_mul_f32_dpp v113, v50, v113 row_newbcast:9 row_mask:0xf bank_mask:0xf// 000000005178: 0AE2E2FA FF015932
	v_mul_f32_dpp v114, v50, v114 row_newbcast:10 row_mask:0xf bank_mask:0xf// 000000005180: 0AE4E4FA FF015A32
	v_mul_f32_dpp v115, v50, v115 row_newbcast:11 row_mask:0xf bank_mask:0xf// 000000005188: 0AE6E6FA FF015B32
	v_mul_f32_e32 v116, v15, v116                              // 000000005190: 0AE8E90F
	v_mul_f32_e32 v117, v15, v117                              // 000000005194: 0AEAEB0F
	v_mul_f32_e32 v118, v15, v118                              // 000000005198: 0AECED0F
	v_mul_f32_e32 v119, v15, v119                              // 00000000519C: 0AEEEF0F
	v_mul_f32_dpp v116, v50, v116 row_newbcast:8 row_mask:0xf bank_mask:0xf// 0000000051A0: 0AE8E8FA FF015832
	v_mul_f32_dpp v117, v50, v117 row_newbcast:9 row_mask:0xf bank_mask:0xf// 0000000051A8: 0AEAEAFA FF015932
	v_mul_f32_dpp v118, v50, v118 row_newbcast:10 row_mask:0xf bank_mask:0xf// 0000000051B0: 0AECECFA FF015A32
	v_mul_f32_dpp v119, v50, v119 row_newbcast:11 row_mask:0xf bank_mask:0xf// 0000000051B8: 0AEEEEFA FF015B32
	s_waitcnt vmcnt(24)                                        // 0000000051C0: BF8C4F78
	buffer_load_dwordx4 a[0:3], v41, s[12:15], 0 offen         // 0000000051C4: E05C1000 80830029
	v_mul_f32_e32 v52, v128, v128                              // 0000000051CC: 0A690180
	v_mul_f32_e32 v53, v129, v129                              // 0000000051D0: 0A6B0381
	v_mul_f32_e32 v54, v130, v130                              // 0000000051D4: 0A6D0582
	v_mul_f32_e32 v55, v131, v131                              // 0000000051D8: 0A6F0783
	v_fma_f32 v52, v52, s77, v1                                // 0000000051DC: D1CB0034 04049B34
	v_fma_f32 v53, v53, s77, v1                                // 0000000051E4: D1CB0035 04049B35
	v_fma_f32 v54, v54, s77, v1                                // 0000000051EC: D1CB0036 04049B36
	v_fma_f32 v55, v55, s77, v1                                // 0000000051F4: D1CB0037 04049B37
	v_mul_f32_e32 v52, v52, v128                               // 0000000051FC: 0A690134
	v_mul_f32_e32 v53, v53, v129                               // 000000005200: 0A6B0335
	v_mul_f32_e32 v54, v54, v130                               // 000000005204: 0A6D0536
	v_mul_f32_e32 v55, v55, v131                               // 000000005208: 0A6F0737
	v_mul_f32_e64 v52, v52, s6                                 // 00000000520C: D1050034 00000D34
	v_mul_f32_e64 v53, v53, s6                                 // 000000005214: D1050035 00000D35
	v_mul_f32_e64 v54, v54, s6                                 // 00000000521C: D1050036 00000D36
	v_mul_f32_e64 v55, v55, s6                                 // 000000005224: D1050037 00000D37
	v_exp_f32_e32 v52, v52                                     // 00000000522C: 7E684134
	v_exp_f32_e32 v53, v53                                     // 000000005230: 7E6A4135
	v_exp_f32_e32 v54, v54                                     // 000000005234: 7E6C4136
	v_exp_f32_e32 v55, v55                                     // 000000005238: 7E6E4137
	buffer_load_dwordx4 a[4:7], v42, s[12:15], 0 offen         // 00000000523C: E05C1000 8083042A
	v_add_f32_e64 v52, v52, 1.0                                // 000000005244: D1010034 0001E534
	v_add_f32_e64 v53, v53, 1.0                                // 00000000524C: D1010035 0001E535
	v_add_f32_e64 v54, v54, 1.0                                // 000000005254: D1010036 0001E536
	v_add_f32_e64 v55, v55, 1.0                                // 00000000525C: D1010037 0001E537
	v_rcp_f32_e32 v52, v52                                     // 000000005264: 7E684534
	v_rcp_f32_e32 v53, v53                                     // 000000005268: 7E6A4535
	v_rcp_f32_e32 v54, v54                                     // 00000000526C: 7E6C4536
	v_rcp_f32_e32 v55, v55                                     // 000000005270: 7E6E4537
	v_mul_f32_e32 v128, v128, v52                              // 000000005274: 0B006980
	v_mul_f32_e32 v129, v129, v53                              // 000000005278: 0B026B81
	v_mul_f32_e32 v130, v130, v54                              // 00000000527C: 0B046D82
	v_mul_f32_e32 v131, v131, v55                              // 000000005280: 0B066F83
	v_mul_f32_e32 v128, v128, v64                              // 000000005284: 0B008180
	v_mul_f32_e32 v129, v129, v65                              // 000000005288: 0B028381
	v_mul_f32_e32 v130, v130, v66                              // 00000000528C: 0B048582
	v_mul_f32_e32 v131, v131, v67                              // 000000005290: 0B068783
	buffer_load_dwordx4 a[8:11], v43, s[12:15], 0 offen        // 000000005294: E05C1000 8083082B
	v_mul_f32_e32 v52, v132, v132                              // 00000000529C: 0A690984
	v_mul_f32_e32 v53, v133, v133                              // 0000000052A0: 0A6B0B85
	v_mul_f32_e32 v54, v134, v134                              // 0000000052A4: 0A6D0D86
	v_mul_f32_e32 v55, v135, v135                              // 0000000052A8: 0A6F0F87
	v_fma_f32 v52, v52, s77, v1                                // 0000000052AC: D1CB0034 04049B34
	v_fma_f32 v53, v53, s77, v1                                // 0000000052B4: D1CB0035 04049B35
	v_fma_f32 v54, v54, s77, v1                                // 0000000052BC: D1CB0036 04049B36
	v_fma_f32 v55, v55, s77, v1                                // 0000000052C4: D1CB0037 04049B37
	v_mul_f32_e32 v52, v52, v132                               // 0000000052CC: 0A690934
	v_mul_f32_e32 v53, v53, v133                               // 0000000052D0: 0A6B0B35
	v_mul_f32_e32 v54, v54, v134                               // 0000000052D4: 0A6D0D36
	v_mul_f32_e32 v55, v55, v135                               // 0000000052D8: 0A6F0F37
	v_mul_f32_e64 v52, v52, s6                                 // 0000000052DC: D1050034 00000D34
	v_mul_f32_e64 v53, v53, s6                                 // 0000000052E4: D1050035 00000D35
	v_mul_f32_e64 v54, v54, s6                                 // 0000000052EC: D1050036 00000D36
	v_mul_f32_e64 v55, v55, s6                                 // 0000000052F4: D1050037 00000D37
	v_exp_f32_e32 v52, v52                                     // 0000000052FC: 7E684134
	v_exp_f32_e32 v53, v53                                     // 000000005300: 7E6A4135
	v_exp_f32_e32 v54, v54                                     // 000000005304: 7E6C4136
	v_exp_f32_e32 v55, v55                                     // 000000005308: 7E6E4137
	buffer_load_dwordx4 a[12:15], v44, s[12:15], 0 offen       // 00000000530C: E05C1000 80830C2C
	s_add_u32 s12, s78, s12                                    // 000000005314: 800C0C4E
	s_addc_u32 s13, 0, s13                                     // 000000005318: 820D0D80
	v_add_f32_e64 v52, v52, 1.0                                // 00000000531C: D1010034 0001E534
	v_add_f32_e64 v53, v53, 1.0                                // 000000005324: D1010035 0001E535
	v_add_f32_e64 v54, v54, 1.0                                // 00000000532C: D1010036 0001E536
	v_add_f32_e64 v55, v55, 1.0                                // 000000005334: D1010037 0001E537
	v_rcp_f32_e32 v52, v52                                     // 00000000533C: 7E684534
	v_rcp_f32_e32 v53, v53                                     // 000000005340: 7E6A4535
	v_rcp_f32_e32 v54, v54                                     // 000000005344: 7E6C4536
	v_rcp_f32_e32 v55, v55                                     // 000000005348: 7E6E4537
	v_mul_f32_e32 v132, v132, v52                              // 00000000534C: 0B086984
	v_mul_f32_e32 v133, v133, v53                              // 000000005350: 0B0A6B85
	v_mul_f32_e32 v134, v134, v54                              // 000000005354: 0B0C6D86
	v_mul_f32_e32 v135, v135, v55                              // 000000005358: 0B0E6F87
	v_mul_f32_e32 v132, v132, v68                              // 00000000535C: 0B088984
	v_mul_f32_e32 v133, v133, v69                              // 000000005360: 0B0A8B85
	v_mul_f32_e32 v134, v134, v70                              // 000000005364: 0B0C8D86
	v_mul_f32_e32 v135, v135, v71                              // 000000005368: 0B0E8F87
	s_waitcnt vmcnt(24)                                        // 00000000536C: BF8C4F78
	buffer_load_dwordx4 a[16:19], v41, s[12:15], 0 offen       // 000000005370: E05C1000 80831029
	v_mul_f32_e32 v52, v136, v136                              // 000000005378: 0A691188
	v_mul_f32_e32 v53, v137, v137                              // 00000000537C: 0A6B1389
	v_mul_f32_e32 v54, v138, v138                              // 000000005380: 0A6D158A
	v_mul_f32_e32 v55, v139, v139                              // 000000005384: 0A6F178B
	v_fma_f32 v52, v52, s77, v1                                // 000000005388: D1CB0034 04049B34
	v_fma_f32 v53, v53, s77, v1                                // 000000005390: D1CB0035 04049B35
	v_fma_f32 v54, v54, s77, v1                                // 000000005398: D1CB0036 04049B36
	v_fma_f32 v55, v55, s77, v1                                // 0000000053A0: D1CB0037 04049B37
	v_mul_f32_e32 v52, v52, v136                               // 0000000053A8: 0A691134
	v_mul_f32_e32 v53, v53, v137                               // 0000000053AC: 0A6B1335
	v_mul_f32_e32 v54, v54, v138                               // 0000000053B0: 0A6D1536
	v_mul_f32_e32 v55, v55, v139                               // 0000000053B4: 0A6F1737
	v_mul_f32_e64 v52, v52, s6                                 // 0000000053B8: D1050034 00000D34
	v_mul_f32_e64 v53, v53, s6                                 // 0000000053C0: D1050035 00000D35
	v_mul_f32_e64 v54, v54, s6                                 // 0000000053C8: D1050036 00000D36
	v_mul_f32_e64 v55, v55, s6                                 // 0000000053D0: D1050037 00000D37
	v_exp_f32_e32 v52, v52                                     // 0000000053D8: 7E684134
	v_exp_f32_e32 v53, v53                                     // 0000000053DC: 7E6A4135
	v_exp_f32_e32 v54, v54                                     // 0000000053E0: 7E6C4136
	v_exp_f32_e32 v55, v55                                     // 0000000053E4: 7E6E4137
	buffer_load_dwordx4 a[20:23], v42, s[12:15], 0 offen       // 0000000053E8: E05C1000 8083142A
	v_add_f32_e64 v52, v52, 1.0                                // 0000000053F0: D1010034 0001E534
	v_add_f32_e64 v53, v53, 1.0                                // 0000000053F8: D1010035 0001E535
	v_add_f32_e64 v54, v54, 1.0                                // 000000005400: D1010036 0001E536
	v_add_f32_e64 v55, v55, 1.0                                // 000000005408: D1010037 0001E537
	v_rcp_f32_e32 v52, v52                                     // 000000005410: 7E684534
	v_rcp_f32_e32 v53, v53                                     // 000000005414: 7E6A4535
	v_rcp_f32_e32 v54, v54                                     // 000000005418: 7E6C4536
	v_rcp_f32_e32 v55, v55                                     // 00000000541C: 7E6E4537
	v_mul_f32_e32 v136, v136, v52                              // 000000005420: 0B106988
	v_mul_f32_e32 v137, v137, v53                              // 000000005424: 0B126B89
	v_mul_f32_e32 v138, v138, v54                              // 000000005428: 0B146D8A
	v_mul_f32_e32 v139, v139, v55                              // 00000000542C: 0B166F8B
	v_mul_f32_e32 v136, v136, v72                              // 000000005430: 0B109188
	v_mul_f32_e32 v137, v137, v73                              // 000000005434: 0B129389
	v_mul_f32_e32 v138, v138, v74                              // 000000005438: 0B14958A
	v_mul_f32_e32 v139, v139, v75                              // 00000000543C: 0B16978B
	buffer_load_dwordx4 a[24:27], v43, s[12:15], 0 offen       // 000000005440: E05C1000 8083182B
	v_mul_f32_e32 v52, v140, v140                              // 000000005448: 0A69198C
	v_mul_f32_e32 v53, v141, v141                              // 00000000544C: 0A6B1B8D
	v_mul_f32_e32 v54, v142, v142                              // 000000005450: 0A6D1D8E
	v_mul_f32_e32 v55, v143, v143                              // 000000005454: 0A6F1F8F
	v_fma_f32 v52, v52, s77, v1                                // 000000005458: D1CB0034 04049B34
	v_fma_f32 v53, v53, s77, v1                                // 000000005460: D1CB0035 04049B35
	v_fma_f32 v54, v54, s77, v1                                // 000000005468: D1CB0036 04049B36
	v_fma_f32 v55, v55, s77, v1                                // 000000005470: D1CB0037 04049B37
	v_mul_f32_e32 v52, v52, v140                               // 000000005478: 0A691934
	v_mul_f32_e32 v53, v53, v141                               // 00000000547C: 0A6B1B35
	v_mul_f32_e32 v54, v54, v142                               // 000000005480: 0A6D1D36
	v_mul_f32_e32 v55, v55, v143                               // 000000005484: 0A6F1F37
	v_mul_f32_e64 v52, v52, s6                                 // 000000005488: D1050034 00000D34
	v_mul_f32_e64 v53, v53, s6                                 // 000000005490: D1050035 00000D35
	v_mul_f32_e64 v54, v54, s6                                 // 000000005498: D1050036 00000D36
	v_mul_f32_e64 v55, v55, s6                                 // 0000000054A0: D1050037 00000D37
	v_exp_f32_e32 v52, v52                                     // 0000000054A8: 7E684134
	v_exp_f32_e32 v53, v53                                     // 0000000054AC: 7E6A4135
	v_exp_f32_e32 v54, v54                                     // 0000000054B0: 7E6C4136
	v_exp_f32_e32 v55, v55                                     // 0000000054B4: 7E6E4137
	buffer_load_dwordx4 a[28:31], v44, s[12:15], 0 offen       // 0000000054B8: E05C1000 80831C2C
	s_add_u32 s12, s78, s12                                    // 0000000054C0: 800C0C4E
	s_addc_u32 s13, 0, s13                                     // 0000000054C4: 820D0D80
	v_add_f32_e64 v52, v52, 1.0                                // 0000000054C8: D1010034 0001E534
	v_add_f32_e64 v53, v53, 1.0                                // 0000000054D0: D1010035 0001E535
	v_add_f32_e64 v54, v54, 1.0                                // 0000000054D8: D1010036 0001E536
	v_add_f32_e64 v55, v55, 1.0                                // 0000000054E0: D1010037 0001E537
	v_rcp_f32_e32 v52, v52                                     // 0000000054E8: 7E684534
	v_rcp_f32_e32 v53, v53                                     // 0000000054EC: 7E6A4535
	v_rcp_f32_e32 v54, v54                                     // 0000000054F0: 7E6C4536
	v_rcp_f32_e32 v55, v55                                     // 0000000054F4: 7E6E4537
	v_mul_f32_e32 v140, v140, v52                              // 0000000054F8: 0B18698C
	v_mul_f32_e32 v141, v141, v53                              // 0000000054FC: 0B1A6B8D
	v_mul_f32_e32 v142, v142, v54                              // 000000005500: 0B1C6D8E
	v_mul_f32_e32 v143, v143, v55                              // 000000005504: 0B1E6F8F
	v_mul_f32_e32 v140, v140, v76                              // 000000005508: 0B18998C
	v_mul_f32_e32 v141, v141, v77                              // 00000000550C: 0B1A9B8D
	v_mul_f32_e32 v142, v142, v78                              // 000000005510: 0B1C9D8E
	v_mul_f32_e32 v143, v143, v79                              // 000000005514: 0B1E9F8F
	s_waitcnt vmcnt(24)                                        // 000000005518: BF8C4F78
	buffer_load_dwordx4 a[32:35], v41, s[12:15], 0 offen       // 00000000551C: E05C1000 80832029
	v_mul_f32_e32 v52, v144, v144                              // 000000005524: 0A692190
	v_mul_f32_e32 v53, v145, v145                              // 000000005528: 0A6B2391
	v_mul_f32_e32 v54, v146, v146                              // 00000000552C: 0A6D2592
	v_mul_f32_e32 v55, v147, v147                              // 000000005530: 0A6F2793
	v_fma_f32 v52, v52, s77, v1                                // 000000005534: D1CB0034 04049B34
	v_fma_f32 v53, v53, s77, v1                                // 00000000553C: D1CB0035 04049B35
	v_fma_f32 v54, v54, s77, v1                                // 000000005544: D1CB0036 04049B36
	v_fma_f32 v55, v55, s77, v1                                // 00000000554C: D1CB0037 04049B37
	v_mul_f32_e32 v52, v52, v144                               // 000000005554: 0A692134
	v_mul_f32_e32 v53, v53, v145                               // 000000005558: 0A6B2335
	v_mul_f32_e32 v54, v54, v146                               // 00000000555C: 0A6D2536
	v_mul_f32_e32 v55, v55, v147                               // 000000005560: 0A6F2737
	v_mul_f32_e64 v52, v52, s6                                 // 000000005564: D1050034 00000D34
	v_mul_f32_e64 v53, v53, s6                                 // 00000000556C: D1050035 00000D35
	v_mul_f32_e64 v54, v54, s6                                 // 000000005574: D1050036 00000D36
	v_mul_f32_e64 v55, v55, s6                                 // 00000000557C: D1050037 00000D37
	v_exp_f32_e32 v52, v52                                     // 000000005584: 7E684134
	v_exp_f32_e32 v53, v53                                     // 000000005588: 7E6A4135
	v_exp_f32_e32 v54, v54                                     // 00000000558C: 7E6C4136
	v_exp_f32_e32 v55, v55                                     // 000000005590: 7E6E4137
	buffer_load_dwordx4 a[36:39], v42, s[12:15], 0 offen       // 000000005594: E05C1000 8083242A
	v_add_f32_e64 v52, v52, 1.0                                // 00000000559C: D1010034 0001E534
	v_add_f32_e64 v53, v53, 1.0                                // 0000000055A4: D1010035 0001E535
	v_add_f32_e64 v54, v54, 1.0                                // 0000000055AC: D1010036 0001E536
	v_add_f32_e64 v55, v55, 1.0                                // 0000000055B4: D1010037 0001E537
	v_rcp_f32_e32 v52, v52                                     // 0000000055BC: 7E684534
	v_rcp_f32_e32 v53, v53                                     // 0000000055C0: 7E6A4535
	v_rcp_f32_e32 v54, v54                                     // 0000000055C4: 7E6C4536
	v_rcp_f32_e32 v55, v55                                     // 0000000055C8: 7E6E4537
	v_mul_f32_e32 v144, v144, v52                              // 0000000055CC: 0B206990
	v_mul_f32_e32 v145, v145, v53                              // 0000000055D0: 0B226B91
	v_mul_f32_e32 v146, v146, v54                              // 0000000055D4: 0B246D92
	v_mul_f32_e32 v147, v147, v55                              // 0000000055D8: 0B266F93
	v_mul_f32_e32 v144, v144, v80                              // 0000000055DC: 0B20A190
	v_mul_f32_e32 v145, v145, v81                              // 0000000055E0: 0B22A391
	v_mul_f32_e32 v146, v146, v82                              // 0000000055E4: 0B24A592
	v_mul_f32_e32 v147, v147, v83                              // 0000000055E8: 0B26A793
	buffer_load_dwordx4 a[40:43], v43, s[12:15], 0 offen       // 0000000055EC: E05C1000 8083282B
	v_mul_f32_e32 v52, v148, v148                              // 0000000055F4: 0A692994
	v_mul_f32_e32 v53, v149, v149                              // 0000000055F8: 0A6B2B95
	v_mul_f32_e32 v54, v150, v150                              // 0000000055FC: 0A6D2D96
	v_mul_f32_e32 v55, v151, v151                              // 000000005600: 0A6F2F97
	v_fma_f32 v52, v52, s77, v1                                // 000000005604: D1CB0034 04049B34
	v_fma_f32 v53, v53, s77, v1                                // 00000000560C: D1CB0035 04049B35
	v_fma_f32 v54, v54, s77, v1                                // 000000005614: D1CB0036 04049B36
	v_fma_f32 v55, v55, s77, v1                                // 00000000561C: D1CB0037 04049B37
	v_mul_f32_e32 v52, v52, v148                               // 000000005624: 0A692934
	v_mul_f32_e32 v53, v53, v149                               // 000000005628: 0A6B2B35
	v_mul_f32_e32 v54, v54, v150                               // 00000000562C: 0A6D2D36
	v_mul_f32_e32 v55, v55, v151                               // 000000005630: 0A6F2F37
	v_mul_f32_e64 v52, v52, s6                                 // 000000005634: D1050034 00000D34
	v_mul_f32_e64 v53, v53, s6                                 // 00000000563C: D1050035 00000D35
	v_mul_f32_e64 v54, v54, s6                                 // 000000005644: D1050036 00000D36
	v_mul_f32_e64 v55, v55, s6                                 // 00000000564C: D1050037 00000D37
	v_exp_f32_e32 v52, v52                                     // 000000005654: 7E684134
	v_exp_f32_e32 v53, v53                                     // 000000005658: 7E6A4135
	v_exp_f32_e32 v54, v54                                     // 00000000565C: 7E6C4136
	v_exp_f32_e32 v55, v55                                     // 000000005660: 7E6E4137
	buffer_load_dwordx4 a[44:47], v44, s[12:15], 0 offen       // 000000005664: E05C1000 80832C2C
	s_add_u32 s12, s78, s12                                    // 00000000566C: 800C0C4E
	s_addc_u32 s13, 0, s13                                     // 000000005670: 820D0D80
	v_add_f32_e64 v52, v52, 1.0                                // 000000005674: D1010034 0001E534
	v_add_f32_e64 v53, v53, 1.0                                // 00000000567C: D1010035 0001E535
	v_add_f32_e64 v54, v54, 1.0                                // 000000005684: D1010036 0001E536
	v_add_f32_e64 v55, v55, 1.0                                // 00000000568C: D1010037 0001E537
	v_rcp_f32_e32 v52, v52                                     // 000000005694: 7E684534
	v_rcp_f32_e32 v53, v53                                     // 000000005698: 7E6A4535
	v_rcp_f32_e32 v54, v54                                     // 00000000569C: 7E6C4536
	v_rcp_f32_e32 v55, v55                                     // 0000000056A0: 7E6E4537
	v_mul_f32_e32 v148, v148, v52                              // 0000000056A4: 0B286994
	v_mul_f32_e32 v149, v149, v53                              // 0000000056A8: 0B2A6B95
	v_mul_f32_e32 v150, v150, v54                              // 0000000056AC: 0B2C6D96
	v_mul_f32_e32 v151, v151, v55                              // 0000000056B0: 0B2E6F97
	v_mul_f32_e32 v148, v148, v84                              // 0000000056B4: 0B28A994
	v_mul_f32_e32 v149, v149, v85                              // 0000000056B8: 0B2AAB95
	v_mul_f32_e32 v150, v150, v86                              // 0000000056BC: 0B2CAD96
	v_mul_f32_e32 v151, v151, v87                              // 0000000056C0: 0B2EAF97
	s_waitcnt vmcnt(24)                                        // 0000000056C4: BF8C4F78
	buffer_load_dwordx4 a[48:51], v41, s[12:15], 0 offen       // 0000000056C8: E05C1000 80833029
	v_mul_f32_e32 v52, v152, v152                              // 0000000056D0: 0A693198
	v_mul_f32_e32 v53, v153, v153                              // 0000000056D4: 0A6B3399
	v_mul_f32_e32 v54, v154, v154                              // 0000000056D8: 0A6D359A
	v_mul_f32_e32 v55, v155, v155                              // 0000000056DC: 0A6F379B
	v_fma_f32 v52, v52, s77, v1                                // 0000000056E0: D1CB0034 04049B34
	v_fma_f32 v53, v53, s77, v1                                // 0000000056E8: D1CB0035 04049B35
	v_fma_f32 v54, v54, s77, v1                                // 0000000056F0: D1CB0036 04049B36
	v_fma_f32 v55, v55, s77, v1                                // 0000000056F8: D1CB0037 04049B37
	v_mul_f32_e32 v52, v52, v152                               // 000000005700: 0A693134
	v_mul_f32_e32 v53, v53, v153                               // 000000005704: 0A6B3335
	v_mul_f32_e32 v54, v54, v154                               // 000000005708: 0A6D3536
	v_mul_f32_e32 v55, v55, v155                               // 00000000570C: 0A6F3737
	v_mul_f32_e64 v52, v52, s6                                 // 000000005710: D1050034 00000D34
	v_mul_f32_e64 v53, v53, s6                                 // 000000005718: D1050035 00000D35
	v_mul_f32_e64 v54, v54, s6                                 // 000000005720: D1050036 00000D36
	v_mul_f32_e64 v55, v55, s6                                 // 000000005728: D1050037 00000D37
	v_exp_f32_e32 v52, v52                                     // 000000005730: 7E684134
	v_exp_f32_e32 v53, v53                                     // 000000005734: 7E6A4135
	v_exp_f32_e32 v54, v54                                     // 000000005738: 7E6C4136
	v_exp_f32_e32 v55, v55                                     // 00000000573C: 7E6E4137
	buffer_load_dwordx4 a[52:55], v42, s[12:15], 0 offen       // 000000005740: E05C1000 8083342A
	v_add_f32_e64 v52, v52, 1.0                                // 000000005748: D1010034 0001E534
	v_add_f32_e64 v53, v53, 1.0                                // 000000005750: D1010035 0001E535
	v_add_f32_e64 v54, v54, 1.0                                // 000000005758: D1010036 0001E536
	v_add_f32_e64 v55, v55, 1.0                                // 000000005760: D1010037 0001E537
	v_rcp_f32_e32 v52, v52                                     // 000000005768: 7E684534
	v_rcp_f32_e32 v53, v53                                     // 00000000576C: 7E6A4535
	v_rcp_f32_e32 v54, v54                                     // 000000005770: 7E6C4536
	v_rcp_f32_e32 v55, v55                                     // 000000005774: 7E6E4537
	v_mul_f32_e32 v152, v152, v52                              // 000000005778: 0B306998
	v_mul_f32_e32 v153, v153, v53                              // 00000000577C: 0B326B99
	v_mul_f32_e32 v154, v154, v54                              // 000000005780: 0B346D9A
	v_mul_f32_e32 v155, v155, v55                              // 000000005784: 0B366F9B
	v_mul_f32_e32 v152, v152, v88                              // 000000005788: 0B30B198
	v_mul_f32_e32 v153, v153, v89                              // 00000000578C: 0B32B399
	v_mul_f32_e32 v154, v154, v90                              // 000000005790: 0B34B59A
	v_mul_f32_e32 v155, v155, v91                              // 000000005794: 0B36B79B
	buffer_load_dwordx4 a[56:59], v43, s[12:15], 0 offen       // 000000005798: E05C1000 8083382B
	v_mul_f32_e32 v52, v156, v156                              // 0000000057A0: 0A69399C
	v_mul_f32_e32 v53, v157, v157                              // 0000000057A4: 0A6B3B9D
	v_mul_f32_e32 v54, v158, v158                              // 0000000057A8: 0A6D3D9E
	v_mul_f32_e32 v55, v159, v159                              // 0000000057AC: 0A6F3F9F
	v_fma_f32 v52, v52, s77, v1                                // 0000000057B0: D1CB0034 04049B34
	v_fma_f32 v53, v53, s77, v1                                // 0000000057B8: D1CB0035 04049B35
	v_fma_f32 v54, v54, s77, v1                                // 0000000057C0: D1CB0036 04049B36
	v_fma_f32 v55, v55, s77, v1                                // 0000000057C8: D1CB0037 04049B37
	v_mul_f32_e32 v52, v52, v156                               // 0000000057D0: 0A693934
	v_mul_f32_e32 v53, v53, v157                               // 0000000057D4: 0A6B3B35
	v_mul_f32_e32 v54, v54, v158                               // 0000000057D8: 0A6D3D36
	v_mul_f32_e32 v55, v55, v159                               // 0000000057DC: 0A6F3F37
	v_mul_f32_e64 v52, v52, s6                                 // 0000000057E0: D1050034 00000D34
	v_mul_f32_e64 v53, v53, s6                                 // 0000000057E8: D1050035 00000D35
	v_mul_f32_e64 v54, v54, s6                                 // 0000000057F0: D1050036 00000D36
	v_mul_f32_e64 v55, v55, s6                                 // 0000000057F8: D1050037 00000D37
	v_exp_f32_e32 v52, v52                                     // 000000005800: 7E684134
	v_exp_f32_e32 v53, v53                                     // 000000005804: 7E6A4135
	v_exp_f32_e32 v54, v54                                     // 000000005808: 7E6C4136
	v_exp_f32_e32 v55, v55                                     // 00000000580C: 7E6E4137
	buffer_load_dwordx4 a[60:63], v44, s[12:15], 0 offen       // 000000005810: E05C1000 80833C2C
	s_add_u32 s12, s78, s12                                    // 000000005818: 800C0C4E
	s_addc_u32 s13, 0, s13                                     // 00000000581C: 820D0D80
	v_add_f32_e64 v52, v52, 1.0                                // 000000005820: D1010034 0001E534
	v_add_f32_e64 v53, v53, 1.0                                // 000000005828: D1010035 0001E535
	v_add_f32_e64 v54, v54, 1.0                                // 000000005830: D1010036 0001E536
	v_add_f32_e64 v55, v55, 1.0                                // 000000005838: D1010037 0001E537
	v_rcp_f32_e32 v52, v52                                     // 000000005840: 7E684534
	v_rcp_f32_e32 v53, v53                                     // 000000005844: 7E6A4535
	v_rcp_f32_e32 v54, v54                                     // 000000005848: 7E6C4536
	v_rcp_f32_e32 v55, v55                                     // 00000000584C: 7E6E4537
	v_mul_f32_e32 v156, v156, v52                              // 000000005850: 0B38699C
	v_mul_f32_e32 v157, v157, v53                              // 000000005854: 0B3A6B9D
	v_mul_f32_e32 v158, v158, v54                              // 000000005858: 0B3C6D9E
	v_mul_f32_e32 v159, v159, v55                              // 00000000585C: 0B3E6F9F
	v_mul_f32_e32 v156, v156, v92                              // 000000005860: 0B38B99C
	v_mul_f32_e32 v157, v157, v93                              // 000000005864: 0B3ABB9D
	v_mul_f32_e32 v158, v158, v94                              // 000000005868: 0B3CBD9E
	v_mul_f32_e32 v159, v159, v95                              // 00000000586C: 0B3EBF9F
	s_waitcnt vmcnt(24)                                        // 000000005870: BF8C4F78
	buffer_load_dwordx4 a[64:67], v41, s[12:15], 0 offen       // 000000005874: E05C1000 80834029
	v_mul_f32_e32 v52, v160, v160                              // 00000000587C: 0A6941A0
	v_mul_f32_e32 v53, v161, v161                              // 000000005880: 0A6B43A1
	v_mul_f32_e32 v54, v162, v162                              // 000000005884: 0A6D45A2
	v_mul_f32_e32 v55, v163, v163                              // 000000005888: 0A6F47A3
	v_fma_f32 v52, v52, s77, v1                                // 00000000588C: D1CB0034 04049B34
	v_fma_f32 v53, v53, s77, v1                                // 000000005894: D1CB0035 04049B35
	v_fma_f32 v54, v54, s77, v1                                // 00000000589C: D1CB0036 04049B36
	v_fma_f32 v55, v55, s77, v1                                // 0000000058A4: D1CB0037 04049B37
	v_mul_f32_e32 v52, v52, v160                               // 0000000058AC: 0A694134
	v_mul_f32_e32 v53, v53, v161                               // 0000000058B0: 0A6B4335
	v_mul_f32_e32 v54, v54, v162                               // 0000000058B4: 0A6D4536
	v_mul_f32_e32 v55, v55, v163                               // 0000000058B8: 0A6F4737
	v_mul_f32_e64 v52, v52, s6                                 // 0000000058BC: D1050034 00000D34
	v_mul_f32_e64 v53, v53, s6                                 // 0000000058C4: D1050035 00000D35
	v_mul_f32_e64 v54, v54, s6                                 // 0000000058CC: D1050036 00000D36
	v_mul_f32_e64 v55, v55, s6                                 // 0000000058D4: D1050037 00000D37
	v_exp_f32_e32 v52, v52                                     // 0000000058DC: 7E684134
	v_exp_f32_e32 v53, v53                                     // 0000000058E0: 7E6A4135
	v_exp_f32_e32 v54, v54                                     // 0000000058E4: 7E6C4136
	v_exp_f32_e32 v55, v55                                     // 0000000058E8: 7E6E4137
	buffer_load_dwordx4 a[68:71], v42, s[12:15], 0 offen       // 0000000058EC: E05C1000 8083442A
	v_add_f32_e64 v52, v52, 1.0                                // 0000000058F4: D1010034 0001E534
	v_add_f32_e64 v53, v53, 1.0                                // 0000000058FC: D1010035 0001E535
	v_add_f32_e64 v54, v54, 1.0                                // 000000005904: D1010036 0001E536
	v_add_f32_e64 v55, v55, 1.0                                // 00000000590C: D1010037 0001E537
	v_rcp_f32_e32 v52, v52                                     // 000000005914: 7E684534
	v_rcp_f32_e32 v53, v53                                     // 000000005918: 7E6A4535
	v_rcp_f32_e32 v54, v54                                     // 00000000591C: 7E6C4536
	v_rcp_f32_e32 v55, v55                                     // 000000005920: 7E6E4537
	v_mul_f32_e32 v160, v160, v52                              // 000000005924: 0B4069A0
	v_mul_f32_e32 v161, v161, v53                              // 000000005928: 0B426BA1
	v_mul_f32_e32 v162, v162, v54                              // 00000000592C: 0B446DA2
	v_mul_f32_e32 v163, v163, v55                              // 000000005930: 0B466FA3
	v_mul_f32_e32 v160, v160, v96                              // 000000005934: 0B40C1A0
	v_mul_f32_e32 v161, v161, v97                              // 000000005938: 0B42C3A1
	v_mul_f32_e32 v162, v162, v98                              // 00000000593C: 0B44C5A2
	v_mul_f32_e32 v163, v163, v99                              // 000000005940: 0B46C7A3
	buffer_load_dwordx4 a[72:75], v43, s[12:15], 0 offen       // 000000005944: E05C1000 8083482B
	v_mul_f32_e32 v52, v164, v164                              // 00000000594C: 0A6949A4
	v_mul_f32_e32 v53, v165, v165                              // 000000005950: 0A6B4BA5
	v_mul_f32_e32 v54, v166, v166                              // 000000005954: 0A6D4DA6
	v_mul_f32_e32 v55, v167, v167                              // 000000005958: 0A6F4FA7
	v_fma_f32 v52, v52, s77, v1                                // 00000000595C: D1CB0034 04049B34
	v_fma_f32 v53, v53, s77, v1                                // 000000005964: D1CB0035 04049B35
	v_fma_f32 v54, v54, s77, v1                                // 00000000596C: D1CB0036 04049B36
	v_fma_f32 v55, v55, s77, v1                                // 000000005974: D1CB0037 04049B37
	v_mul_f32_e32 v52, v52, v164                               // 00000000597C: 0A694934
	v_mul_f32_e32 v53, v53, v165                               // 000000005980: 0A6B4B35
	v_mul_f32_e32 v54, v54, v166                               // 000000005984: 0A6D4D36
	v_mul_f32_e32 v55, v55, v167                               // 000000005988: 0A6F4F37
	v_mul_f32_e64 v52, v52, s6                                 // 00000000598C: D1050034 00000D34
	v_mul_f32_e64 v53, v53, s6                                 // 000000005994: D1050035 00000D35
	v_mul_f32_e64 v54, v54, s6                                 // 00000000599C: D1050036 00000D36
	v_mul_f32_e64 v55, v55, s6                                 // 0000000059A4: D1050037 00000D37
	v_exp_f32_e32 v52, v52                                     // 0000000059AC: 7E684134
	v_exp_f32_e32 v53, v53                                     // 0000000059B0: 7E6A4135
	v_exp_f32_e32 v54, v54                                     // 0000000059B4: 7E6C4136
	v_exp_f32_e32 v55, v55                                     // 0000000059B8: 7E6E4137
	buffer_load_dwordx4 a[76:79], v44, s[12:15], 0 offen       // 0000000059BC: E05C1000 80834C2C
	s_add_u32 s12, s78, s12                                    // 0000000059C4: 800C0C4E
	s_addc_u32 s13, 0, s13                                     // 0000000059C8: 820D0D80
	v_add_f32_e64 v52, v52, 1.0                                // 0000000059CC: D1010034 0001E534
	v_add_f32_e64 v53, v53, 1.0                                // 0000000059D4: D1010035 0001E535
	v_add_f32_e64 v54, v54, 1.0                                // 0000000059DC: D1010036 0001E536
	v_add_f32_e64 v55, v55, 1.0                                // 0000000059E4: D1010037 0001E537
	v_rcp_f32_e32 v52, v52                                     // 0000000059EC: 7E684534
	v_rcp_f32_e32 v53, v53                                     // 0000000059F0: 7E6A4535
	v_rcp_f32_e32 v54, v54                                     // 0000000059F4: 7E6C4536
	v_rcp_f32_e32 v55, v55                                     // 0000000059F8: 7E6E4537
	v_mul_f32_e32 v164, v164, v52                              // 0000000059FC: 0B4869A4
	v_mul_f32_e32 v165, v165, v53                              // 000000005A00: 0B4A6BA5
	v_mul_f32_e32 v166, v166, v54                              // 000000005A04: 0B4C6DA6
	v_mul_f32_e32 v167, v167, v55                              // 000000005A08: 0B4E6FA7
	v_mul_f32_e32 v164, v164, v100                             // 000000005A0C: 0B48C9A4
	v_mul_f32_e32 v165, v165, v101                             // 000000005A10: 0B4ACBA5
	v_mul_f32_e32 v166, v166, v102                             // 000000005A14: 0B4CCDA6
	v_mul_f32_e32 v167, v167, v103                             // 000000005A18: 0B4ECFA7
	s_waitcnt vmcnt(24)                                        // 000000005A1C: BF8C4F78
	buffer_load_dwordx4 a[80:83], v41, s[12:15], 0 offen       // 000000005A20: E05C1000 80835029
	v_mul_f32_e32 v52, v168, v168                              // 000000005A28: 0A6951A8
	v_mul_f32_e32 v53, v169, v169                              // 000000005A2C: 0A6B53A9
	v_mul_f32_e32 v54, v170, v170                              // 000000005A30: 0A6D55AA
	v_mul_f32_e32 v55, v171, v171                              // 000000005A34: 0A6F57AB
	v_fma_f32 v52, v52, s77, v1                                // 000000005A38: D1CB0034 04049B34
	v_fma_f32 v53, v53, s77, v1                                // 000000005A40: D1CB0035 04049B35
	v_fma_f32 v54, v54, s77, v1                                // 000000005A48: D1CB0036 04049B36
	v_fma_f32 v55, v55, s77, v1                                // 000000005A50: D1CB0037 04049B37
	v_mul_f32_e32 v52, v52, v168                               // 000000005A58: 0A695134
	v_mul_f32_e32 v53, v53, v169                               // 000000005A5C: 0A6B5335
	v_mul_f32_e32 v54, v54, v170                               // 000000005A60: 0A6D5536
	v_mul_f32_e32 v55, v55, v171                               // 000000005A64: 0A6F5737
	v_mul_f32_e64 v52, v52, s6                                 // 000000005A68: D1050034 00000D34
	v_mul_f32_e64 v53, v53, s6                                 // 000000005A70: D1050035 00000D35
	v_mul_f32_e64 v54, v54, s6                                 // 000000005A78: D1050036 00000D36
	v_mul_f32_e64 v55, v55, s6                                 // 000000005A80: D1050037 00000D37
	v_exp_f32_e32 v52, v52                                     // 000000005A88: 7E684134
	v_exp_f32_e32 v53, v53                                     // 000000005A8C: 7E6A4135
	v_exp_f32_e32 v54, v54                                     // 000000005A90: 7E6C4136
	v_exp_f32_e32 v55, v55                                     // 000000005A94: 7E6E4137
	buffer_load_dwordx4 a[84:87], v42, s[12:15], 0 offen       // 000000005A98: E05C1000 8083542A
	v_add_f32_e64 v52, v52, 1.0                                // 000000005AA0: D1010034 0001E534
	v_add_f32_e64 v53, v53, 1.0                                // 000000005AA8: D1010035 0001E535
	v_add_f32_e64 v54, v54, 1.0                                // 000000005AB0: D1010036 0001E536
	v_add_f32_e64 v55, v55, 1.0                                // 000000005AB8: D1010037 0001E537
	v_rcp_f32_e32 v52, v52                                     // 000000005AC0: 7E684534
	v_rcp_f32_e32 v53, v53                                     // 000000005AC4: 7E6A4535
	v_rcp_f32_e32 v54, v54                                     // 000000005AC8: 7E6C4536
	v_rcp_f32_e32 v55, v55                                     // 000000005ACC: 7E6E4537
	v_mul_f32_e32 v168, v168, v52                              // 000000005AD0: 0B5069A8
	v_mul_f32_e32 v169, v169, v53                              // 000000005AD4: 0B526BA9
	v_mul_f32_e32 v170, v170, v54                              // 000000005AD8: 0B546DAA
	v_mul_f32_e32 v171, v171, v55                              // 000000005ADC: 0B566FAB
	v_mul_f32_e32 v168, v168, v104                             // 000000005AE0: 0B50D1A8
	v_mul_f32_e32 v169, v169, v105                             // 000000005AE4: 0B52D3A9
	v_mul_f32_e32 v170, v170, v106                             // 000000005AE8: 0B54D5AA
	v_mul_f32_e32 v171, v171, v107                             // 000000005AEC: 0B56D7AB
	buffer_load_dwordx4 a[88:91], v43, s[12:15], 0 offen       // 000000005AF0: E05C1000 8083582B
	v_mul_f32_e32 v52, v172, v172                              // 000000005AF8: 0A6959AC
	v_mul_f32_e32 v53, v173, v173                              // 000000005AFC: 0A6B5BAD
	v_mul_f32_e32 v54, v174, v174                              // 000000005B00: 0A6D5DAE
	v_mul_f32_e32 v55, v175, v175                              // 000000005B04: 0A6F5FAF
	v_fma_f32 v52, v52, s77, v1                                // 000000005B08: D1CB0034 04049B34
	v_fma_f32 v53, v53, s77, v1                                // 000000005B10: D1CB0035 04049B35
	v_fma_f32 v54, v54, s77, v1                                // 000000005B18: D1CB0036 04049B36
	v_fma_f32 v55, v55, s77, v1                                // 000000005B20: D1CB0037 04049B37
	v_mul_f32_e32 v52, v52, v172                               // 000000005B28: 0A695934
	v_mul_f32_e32 v53, v53, v173                               // 000000005B2C: 0A6B5B35
	v_mul_f32_e32 v54, v54, v174                               // 000000005B30: 0A6D5D36
	v_mul_f32_e32 v55, v55, v175                               // 000000005B34: 0A6F5F37
	v_mul_f32_e64 v52, v52, s6                                 // 000000005B38: D1050034 00000D34
	v_mul_f32_e64 v53, v53, s6                                 // 000000005B40: D1050035 00000D35
	v_mul_f32_e64 v54, v54, s6                                 // 000000005B48: D1050036 00000D36
	v_mul_f32_e64 v55, v55, s6                                 // 000000005B50: D1050037 00000D37
	v_exp_f32_e32 v52, v52                                     // 000000005B58: 7E684134
	v_exp_f32_e32 v53, v53                                     // 000000005B5C: 7E6A4135
	v_exp_f32_e32 v54, v54                                     // 000000005B60: 7E6C4136
	v_exp_f32_e32 v55, v55                                     // 000000005B64: 7E6E4137
	buffer_load_dwordx4 a[92:95], v44, s[12:15], 0 offen       // 000000005B68: E05C1000 80835C2C
	s_add_u32 s12, s78, s12                                    // 000000005B70: 800C0C4E
	s_addc_u32 s13, 0, s13                                     // 000000005B74: 820D0D80
	v_add_f32_e64 v52, v52, 1.0                                // 000000005B78: D1010034 0001E534
	v_add_f32_e64 v53, v53, 1.0                                // 000000005B80: D1010035 0001E535
	v_add_f32_e64 v54, v54, 1.0                                // 000000005B88: D1010036 0001E536
	v_add_f32_e64 v55, v55, 1.0                                // 000000005B90: D1010037 0001E537
	v_rcp_f32_e32 v52, v52                                     // 000000005B98: 7E684534
	v_rcp_f32_e32 v53, v53                                     // 000000005B9C: 7E6A4535
	v_rcp_f32_e32 v54, v54                                     // 000000005BA0: 7E6C4536
	v_rcp_f32_e32 v55, v55                                     // 000000005BA4: 7E6E4537
	v_mul_f32_e32 v172, v172, v52                              // 000000005BA8: 0B5869AC
	v_mul_f32_e32 v173, v173, v53                              // 000000005BAC: 0B5A6BAD
	v_mul_f32_e32 v174, v174, v54                              // 000000005BB0: 0B5C6DAE
	v_mul_f32_e32 v175, v175, v55                              // 000000005BB4: 0B5E6FAF
	v_mul_f32_e32 v172, v172, v108                             // 000000005BB8: 0B58D9AC
	v_mul_f32_e32 v173, v173, v109                             // 000000005BBC: 0B5ADBAD
	v_mul_f32_e32 v174, v174, v110                             // 000000005BC0: 0B5CDDAE
	v_mul_f32_e32 v175, v175, v111                             // 000000005BC4: 0B5EDFAF
	s_waitcnt vmcnt(24)                                        // 000000005BC8: BF8C4F78
	buffer_load_dwordx4 a[96:99], v41, s[12:15], 0 offen       // 000000005BCC: E05C1000 80836029
	v_mul_f32_e32 v52, v176, v176                              // 000000005BD4: 0A6961B0
	v_mul_f32_e32 v53, v177, v177                              // 000000005BD8: 0A6B63B1
	v_mul_f32_e32 v54, v178, v178                              // 000000005BDC: 0A6D65B2
	v_mul_f32_e32 v55, v179, v179                              // 000000005BE0: 0A6F67B3
	v_fma_f32 v52, v52, s77, v1                                // 000000005BE4: D1CB0034 04049B34
	v_fma_f32 v53, v53, s77, v1                                // 000000005BEC: D1CB0035 04049B35
	v_fma_f32 v54, v54, s77, v1                                // 000000005BF4: D1CB0036 04049B36
	v_fma_f32 v55, v55, s77, v1                                // 000000005BFC: D1CB0037 04049B37
	v_mul_f32_e32 v52, v52, v176                               // 000000005C04: 0A696134
	v_mul_f32_e32 v53, v53, v177                               // 000000005C08: 0A6B6335
	v_mul_f32_e32 v54, v54, v178                               // 000000005C0C: 0A6D6536
	v_mul_f32_e32 v55, v55, v179                               // 000000005C10: 0A6F6737
	v_mul_f32_e64 v52, v52, s6                                 // 000000005C14: D1050034 00000D34
	v_mul_f32_e64 v53, v53, s6                                 // 000000005C1C: D1050035 00000D35
	v_mul_f32_e64 v54, v54, s6                                 // 000000005C24: D1050036 00000D36
	v_mul_f32_e64 v55, v55, s6                                 // 000000005C2C: D1050037 00000D37
	v_exp_f32_e32 v52, v52                                     // 000000005C34: 7E684134
	v_exp_f32_e32 v53, v53                                     // 000000005C38: 7E6A4135
	v_exp_f32_e32 v54, v54                                     // 000000005C3C: 7E6C4136
	v_exp_f32_e32 v55, v55                                     // 000000005C40: 7E6E4137
	buffer_load_dwordx4 a[100:103], v42, s[12:15], 0 offen     // 000000005C44: E05C1000 8083642A
	v_add_f32_e64 v52, v52, 1.0                                // 000000005C4C: D1010034 0001E534
	v_add_f32_e64 v53, v53, 1.0                                // 000000005C54: D1010035 0001E535
	v_add_f32_e64 v54, v54, 1.0                                // 000000005C5C: D1010036 0001E536
	v_add_f32_e64 v55, v55, 1.0                                // 000000005C64: D1010037 0001E537
	v_rcp_f32_e32 v52, v52                                     // 000000005C6C: 7E684534
	v_rcp_f32_e32 v53, v53                                     // 000000005C70: 7E6A4535
	v_rcp_f32_e32 v54, v54                                     // 000000005C74: 7E6C4536
	v_rcp_f32_e32 v55, v55                                     // 000000005C78: 7E6E4537
	v_mul_f32_e32 v176, v176, v52                              // 000000005C7C: 0B6069B0
	v_mul_f32_e32 v177, v177, v53                              // 000000005C80: 0B626BB1
	v_mul_f32_e32 v178, v178, v54                              // 000000005C84: 0B646DB2
	v_mul_f32_e32 v179, v179, v55                              // 000000005C88: 0B666FB3
	v_mul_f32_e32 v176, v176, v112                             // 000000005C8C: 0B60E1B0
	v_mul_f32_e32 v177, v177, v113                             // 000000005C90: 0B62E3B1
	v_mul_f32_e32 v178, v178, v114                             // 000000005C94: 0B64E5B2
	v_mul_f32_e32 v179, v179, v115                             // 000000005C98: 0B66E7B3
	buffer_load_dwordx4 a[104:107], v43, s[12:15], 0 offen     // 000000005C9C: E05C1000 8083682B
	v_mul_f32_e32 v52, v180, v180                              // 000000005CA4: 0A6969B4
	v_mul_f32_e32 v53, v181, v181                              // 000000005CA8: 0A6B6BB5
	v_mul_f32_e32 v54, v182, v182                              // 000000005CAC: 0A6D6DB6
	v_mul_f32_e32 v55, v183, v183                              // 000000005CB0: 0A6F6FB7
	v_fma_f32 v52, v52, s77, v1                                // 000000005CB4: D1CB0034 04049B34
	v_fma_f32 v53, v53, s77, v1                                // 000000005CBC: D1CB0035 04049B35
	v_fma_f32 v54, v54, s77, v1                                // 000000005CC4: D1CB0036 04049B36
	v_fma_f32 v55, v55, s77, v1                                // 000000005CCC: D1CB0037 04049B37
	v_mul_f32_e32 v52, v52, v180                               // 000000005CD4: 0A696934
	v_mul_f32_e32 v53, v53, v181                               // 000000005CD8: 0A6B6B35
	v_mul_f32_e32 v54, v54, v182                               // 000000005CDC: 0A6D6D36
	v_mul_f32_e32 v55, v55, v183                               // 000000005CE0: 0A6F6F37
	v_mul_f32_e64 v52, v52, s6                                 // 000000005CE4: D1050034 00000D34
	v_mul_f32_e64 v53, v53, s6                                 // 000000005CEC: D1050035 00000D35
	v_mul_f32_e64 v54, v54, s6                                 // 000000005CF4: D1050036 00000D36
	v_mul_f32_e64 v55, v55, s6                                 // 000000005CFC: D1050037 00000D37
	v_exp_f32_e32 v52, v52                                     // 000000005D04: 7E684134
	v_exp_f32_e32 v53, v53                                     // 000000005D08: 7E6A4135
	v_exp_f32_e32 v54, v54                                     // 000000005D0C: 7E6C4136
	v_exp_f32_e32 v55, v55                                     // 000000005D10: 7E6E4137
	buffer_load_dwordx4 a[108:111], v44, s[12:15], 0 offen     // 000000005D14: E05C1000 80836C2C
	v_add_f32_e64 v52, v52, 1.0                                // 000000005D1C: D1010034 0001E534
	v_add_f32_e64 v53, v53, 1.0                                // 000000005D24: D1010035 0001E535
	v_add_f32_e64 v54, v54, 1.0                                // 000000005D2C: D1010036 0001E536
	v_add_f32_e64 v55, v55, 1.0                                // 000000005D34: D1010037 0001E537
	v_rcp_f32_e32 v52, v52                                     // 000000005D3C: 7E684534
	v_rcp_f32_e32 v53, v53                                     // 000000005D40: 7E6A4535
	v_rcp_f32_e32 v54, v54                                     // 000000005D44: 7E6C4536
	v_rcp_f32_e32 v55, v55                                     // 000000005D48: 7E6E4537
	v_mul_f32_e32 v180, v180, v52                              // 000000005D4C: 0B6869B4
	v_mul_f32_e32 v181, v181, v53                              // 000000005D50: 0B6A6BB5
	v_mul_f32_e32 v182, v182, v54                              // 000000005D54: 0B6C6DB6
	v_mul_f32_e32 v183, v183, v55                              // 000000005D58: 0B6E6FB7
	v_mul_f32_e32 v180, v180, v116                             // 000000005D5C: 0B68E9B4
	v_mul_f32_e32 v181, v181, v117                             // 000000005D60: 0B6AEBB5
	v_mul_f32_e32 v182, v182, v118                             // 000000005D64: 0B6CEDB6
	v_mul_f32_e32 v183, v183, v119                             // 000000005D68: 0B6EEFB7
	v_lshlrev_b32_e32 v52, 2, v0                               // 000000005D6C: 24680082
	s_mul_i32 s60, s82, s71                                    // 000000005D70: 923C4752
	v_add_u32_e64 v80, v52, s60                                // 000000005D74: D1340050 00007934
	v_mov_b32_e32 v81, 0                                       // 000000005D7C: 7EA20280
	s_mul_i32 s60, s83, s71                                    // 000000005D80: 923C4753
	v_add_u32_e64 v82, v52, s60                                // 000000005D84: D1340052 00007934
	v_mov_b32_e32 v83, 0                                       // 000000005D8C: 7EA60280
	s_mul_i32 s60, s84, s71                                    // 000000005D90: 923C4754
	v_add_u32_e64 v84, v52, s60                                // 000000005D94: D1340054 00007934
	v_mov_b32_e32 v85, 0                                       // 000000005D9C: 7EAA0280
	s_mul_i32 s60, s85, s71                                    // 000000005DA0: 923C4755
	v_add_u32_e64 v86, v52, s60                                // 000000005DA4: D1340056 00007934
	v_mov_b32_e32 v87, 0                                       // 000000005DAC: 7EAE0280
	s_mul_i32 s60, s86, s71                                    // 000000005DB0: 923C4756
	v_add_u32_e64 v88, v52, s60                                // 000000005DB4: D1340058 00007934
	v_mov_b32_e32 v89, 0                                       // 000000005DBC: 7EB20280
	s_mul_i32 s60, s87, s71                                    // 000000005DC0: 923C4757
	v_add_u32_e64 v90, v52, s60                                // 000000005DC4: D134005A 00007934
	v_mov_b32_e32 v91, 0                                       // 000000005DCC: 7EB60280
	s_mul_i32 s60, s88, s71                                    // 000000005DD0: 923C4758
	v_add_u32_e64 v92, v52, s60                                // 000000005DD4: D134005C 00007934
	v_mov_b32_e32 v93, 0                                       // 000000005DDC: 7EBA0280
	s_mul_i32 s60, s89, s71                                    // 000000005DE0: 923C4759
	v_add_u32_e64 v94, v52, s60                                // 000000005DE4: D134005E 00007934
	v_mov_b32_e32 v95, 0                                       // 000000005DEC: 7EBE0280
	buffer_load_dword v12, v5, s[16:19], 0 offen               // 000000005DF0: E0501000 80040C05
	v_mov_b32_e32 v22, 0x358637bd                              // 000000005DF8: 7E2C02FF 358637BD
	v_mov_b32_e32 v23, 0x358637bd                              // 000000005E00: 7E2E02FF 358637BD
	v_max3_f32 v22, |v128|, |v129|, v22                        // 000000005E08: D1D30316 045B0380
	v_max3_f32 v22, |v130|, |v131|, v22                        // 000000005E10: D1D30316 045B0782
	v_max3_f32 v23, |v132|, |v133|, v23                        // 000000005E18: D1D30317 045F0B84
	v_max3_f32 v23, |v134|, |v135|, v23                        // 000000005E20: D1D30317 045F0F86
	v_max3_f32 v22, |v136|, |v137|, v22                        // 000000005E28: D1D30316 045B1388
	v_max3_f32 v22, |v138|, |v139|, v22                        // 000000005E30: D1D30316 045B178A
	v_max3_f32 v23, |v140|, |v141|, v23                        // 000000005E38: D1D30317 045F1B8C
	v_max3_f32 v23, |v142|, |v143|, v23                        // 000000005E40: D1D30317 045F1F8E
	v_max3_f32 v22, |v144|, |v145|, v22                        // 000000005E48: D1D30316 045B2390
	v_max3_f32 v22, |v146|, |v147|, v22                        // 000000005E50: D1D30316 045B2792
	v_max3_f32 v23, |v148|, |v149|, v23                        // 000000005E58: D1D30317 045F2B94
	v_max3_f32 v23, |v150|, |v151|, v23                        // 000000005E60: D1D30317 045F2F96
	v_max3_f32 v22, |v152|, |v153|, v22                        // 000000005E68: D1D30316 045B3398
	v_max3_f32 v22, |v154|, |v155|, v22                        // 000000005E70: D1D30316 045B379A
	v_max3_f32 v23, |v156|, |v157|, v23                        // 000000005E78: D1D30317 045F3B9C
	v_max3_f32 v23, |v158|, |v159|, v23                        // 000000005E80: D1D30317 045F3F9E
	v_max3_f32 v22, |v160|, |v161|, v22                        // 000000005E88: D1D30316 045B43A0
	v_max3_f32 v22, |v162|, |v163|, v22                        // 000000005E90: D1D30316 045B47A2
	v_max3_f32 v23, |v164|, |v165|, v23                        // 000000005E98: D1D30317 045F4BA4
	v_max3_f32 v23, |v166|, |v167|, v23                        // 000000005EA0: D1D30317 045F4FA6
	v_max3_f32 v22, |v168|, |v169|, v22                        // 000000005EA8: D1D30316 045B53A8
	v_max3_f32 v22, |v170|, |v171|, v22                        // 000000005EB0: D1D30316 045B57AA
	v_max3_f32 v23, |v172|, |v173|, v23                        // 000000005EB8: D1D30317 045F5BAC
	v_max3_f32 v23, |v174|, |v175|, v23                        // 000000005EC0: D1D30317 045F5FAE
	v_max3_f32 v22, |v176|, |v177|, v22                        // 000000005EC8: D1D30316 045B63B0
	v_max3_f32 v22, |v178|, |v179|, v22                        // 000000005ED0: D1D30316 045B67B2
	v_max3_f32 v23, |v180|, |v181|, v23                        // 000000005ED8: D1D30317 045F6BB4
	v_max3_f32 v23, |v182|, |v183|, v23                        // 000000005EE0: D1D30317 045F6FB6
	v_lshlrev_b32_e32 v52, 3, v0                               // 000000005EE8: 24680083
	s_mul_i32 s60, 0x200, s7                                   // 000000005EEC: 923C07FF 00000200
	v_add_u32_e32 v52, s60, v52                                // 000000005EF4: 6868683C
	ds_write_b64 v52, v[22:23] offset:16640                    // 000000005EF8: D89A4100 00001634
	s_waitcnt lgkmcnt(0)                                       // 000000005F00: BF8CC07F
	s_barrier                                                  // 000000005F04: BF8A0000
	v_and_b32_e32 v52, 15, v0                                  // 000000005F08: 2668008F
	v_lshlrev_b32_e32 v52, 3, v52                              // 000000005F0C: 24686883
	ds_read_b64 v[96:97], v52 offset:16640                     // 000000005F10: D8EC4100 60000034
	ds_read_b64 v[98:99], v52 offset:16768                     // 000000005F18: D8EC4180 62000034
	ds_read_b64 v[100:101], v52 offset:16896                   // 000000005F20: D8EC4200 64000034
	ds_read_b64 v[102:103], v52 offset:17024                   // 000000005F28: D8EC4280 66000034
	ds_read_b64 v[104:105], v52 offset:17152                   // 000000005F30: D8EC4300 68000034
	ds_read_b64 v[106:107], v52 offset:17280                   // 000000005F38: D8EC4380 6A000034
	ds_read_b64 v[108:109], v52 offset:17408                   // 000000005F40: D8EC4400 6C000034
	ds_read_b64 v[110:111], v52 offset:17536                   // 000000005F48: D8EC4480 6E000034
	ds_read_b64 v[112:113], v52 offset:17664                   // 000000005F50: D8EC4500 70000034
	ds_read_b64 v[114:115], v52 offset:17792                   // 000000005F58: D8EC4580 72000034
	ds_read_b64 v[116:117], v52 offset:17920                   // 000000005F60: D8EC4600 74000034
	ds_read_b64 v[118:119], v52 offset:18048                   // 000000005F68: D8EC4680 76000034
	ds_read_b64 v[120:121], v52 offset:18176                   // 000000005F70: D8EC4700 78000034
	ds_read_b64 v[122:123], v52 offset:18304                   // 000000005F78: D8EC4780 7A000034
	ds_read_b64 v[124:125], v52 offset:18432                   // 000000005F80: D8EC4800 7C000034
	ds_read_b64 v[126:127], v52 offset:18560                   // 000000005F88: D8EC4880 7E000034
	s_waitcnt lgkmcnt(0)                                       // 000000005F90: BF8CC07F
	v_max3_f32 v22, |v96|, |v98|, v22                          // 000000005F94: D1D30316 045AC560
	v_max3_f32 v23, |v97|, |v99|, v23                          // 000000005F9C: D1D30317 045EC761
	v_max3_f32 v22, |v100|, |v102|, v22                        // 000000005FA4: D1D30316 045ACD64
	v_max3_f32 v23, |v101|, |v103|, v23                        // 000000005FAC: D1D30317 045ECF65
	v_max3_f32 v22, |v104|, |v106|, v22                        // 000000005FB4: D1D30316 045AD568
	v_max3_f32 v23, |v105|, |v107|, v23                        // 000000005FBC: D1D30317 045ED769
	v_max3_f32 v22, |v108|, |v110|, v22                        // 000000005FC4: D1D30316 045ADD6C
	v_max3_f32 v23, |v109|, |v111|, v23                        // 000000005FCC: D1D30317 045EDF6D
	v_max3_f32 v22, |v112|, |v114|, v22                        // 000000005FD4: D1D30316 045AE570
	v_max3_f32 v23, |v113|, |v115|, v23                        // 000000005FDC: D1D30317 045EE771
	v_max3_f32 v22, |v116|, |v118|, v22                        // 000000005FE4: D1D30316 045AED74
	v_max3_f32 v23, |v117|, |v119|, v23                        // 000000005FEC: D1D30317 045EEF75
	v_max3_f32 v22, |v120|, |v122|, v22                        // 000000005FF4: D1D30316 045AF578
	v_max3_f32 v23, |v121|, |v123|, v23                        // 000000005FFC: D1D30317 045EF779
	v_max3_f32 v22, |v124|, |v126|, v22                        // 000000006004: D1D30316 045AFD7C
	v_max3_f32 v23, |v125|, |v127|, v23                        // 00000000600C: D1D30317 045EFF7D
	v_rcp_f32_e32 v22, v22                                     // 000000006014: 7E2C4516
	v_rcp_f32_e32 v23, v23                                     // 000000006018: 7E2E4517
	v_mov_b32_e32 v52, 0x43e00000                              // 00000000601C: 7E6802FF 43E00000
	v_mul_f32_e32 v22, v52, v22                                // 000000006024: 0A2C2D34
	v_mul_f32_e32 v23, v52, v23                                // 000000006028: 0A2E2F34
	v_mul_f32_e32 v128, v22, v128                              // 00000000602C: 0B010116
	v_mul_f32_e32 v129, v22, v129                              // 000000006030: 0B030316
	v_mul_f32_e32 v130, v22, v130                              // 000000006034: 0B050516
	v_mul_f32_e32 v131, v22, v131                              // 000000006038: 0B070716
	v_cvt_pk_fp8_f32 v128, v128, v129                          // 00000000603C: D2A20080 00030380
	v_cvt_pk_fp8_f32 v128, v130, v131 op_sel:[0,0,1]           // 000000006044: D2A24080 00030782
	v_mul_f32_e32 v132, v23, v132                              // 00000000604C: 0B090917
	v_mul_f32_e32 v133, v23, v133                              // 000000006050: 0B0B0B17
	v_mul_f32_e32 v134, v23, v134                              // 000000006054: 0B0D0D17
	v_mul_f32_e32 v135, v23, v135                              // 000000006058: 0B0F0F17
	v_cvt_pk_fp8_f32 v129, v132, v133                          // 00000000605C: D2A20081 00030B84
	v_cvt_pk_fp8_f32 v129, v134, v135 op_sel:[0,0,1]           // 000000006064: D2A24081 00030F86
	v_mul_f32_e32 v136, v22, v136                              // 00000000606C: 0B111116
	v_mul_f32_e32 v137, v22, v137                              // 000000006070: 0B131316
	v_mul_f32_e32 v138, v22, v138                              // 000000006074: 0B151516
	v_mul_f32_e32 v139, v22, v139                              // 000000006078: 0B171716
	v_cvt_pk_fp8_f32 v130, v136, v137                          // 00000000607C: D2A20082 00031388
	v_cvt_pk_fp8_f32 v130, v138, v139 op_sel:[0,0,1]           // 000000006084: D2A24082 0003178A
	v_mul_f32_e32 v140, v23, v140                              // 00000000608C: 0B191917
	v_mul_f32_e32 v141, v23, v141                              // 000000006090: 0B1B1B17
	v_mul_f32_e32 v142, v23, v142                              // 000000006094: 0B1D1D17
	v_mul_f32_e32 v143, v23, v143                              // 000000006098: 0B1F1F17
	v_cvt_pk_fp8_f32 v131, v140, v141                          // 00000000609C: D2A20083 00031B8C
	v_cvt_pk_fp8_f32 v131, v142, v143 op_sel:[0,0,1]           // 0000000060A4: D2A24083 00031F8E
	v_mul_f32_e32 v144, v22, v144                              // 0000000060AC: 0B212116
	v_mul_f32_e32 v145, v22, v145                              // 0000000060B0: 0B232316
	v_mul_f32_e32 v146, v22, v146                              // 0000000060B4: 0B252516
	v_mul_f32_e32 v147, v22, v147                              // 0000000060B8: 0B272716
	v_cvt_pk_fp8_f32 v132, v144, v145                          // 0000000060BC: D2A20084 00032390
	v_cvt_pk_fp8_f32 v132, v146, v147 op_sel:[0,0,1]           // 0000000060C4: D2A24084 00032792
	v_mul_f32_e32 v148, v23, v148                              // 0000000060CC: 0B292917
	v_mul_f32_e32 v149, v23, v149                              // 0000000060D0: 0B2B2B17
	v_mul_f32_e32 v150, v23, v150                              // 0000000060D4: 0B2D2D17
	v_mul_f32_e32 v151, v23, v151                              // 0000000060D8: 0B2F2F17
	v_cvt_pk_fp8_f32 v133, v148, v149                          // 0000000060DC: D2A20085 00032B94
	v_cvt_pk_fp8_f32 v133, v150, v151 op_sel:[0,0,1]           // 0000000060E4: D2A24085 00032F96
	v_mul_f32_e32 v152, v22, v152                              // 0000000060EC: 0B313116
	v_mul_f32_e32 v153, v22, v153                              // 0000000060F0: 0B333316
	v_mul_f32_e32 v154, v22, v154                              // 0000000060F4: 0B353516
	v_mul_f32_e32 v155, v22, v155                              // 0000000060F8: 0B373716
	v_cvt_pk_fp8_f32 v134, v152, v153                          // 0000000060FC: D2A20086 00033398
	v_cvt_pk_fp8_f32 v134, v154, v155 op_sel:[0,0,1]           // 000000006104: D2A24086 0003379A
	v_mul_f32_e32 v156, v23, v156                              // 00000000610C: 0B393917
	v_mul_f32_e32 v157, v23, v157                              // 000000006110: 0B3B3B17
	v_mul_f32_e32 v158, v23, v158                              // 000000006114: 0B3D3D17
	v_mul_f32_e32 v159, v23, v159                              // 000000006118: 0B3F3F17
	v_cvt_pk_fp8_f32 v135, v156, v157                          // 00000000611C: D2A20087 00033B9C
	v_cvt_pk_fp8_f32 v135, v158, v159 op_sel:[0,0,1]           // 000000006124: D2A24087 00033F9E
	v_mul_f32_e32 v160, v22, v160                              // 00000000612C: 0B414116
	v_mul_f32_e32 v161, v22, v161                              // 000000006130: 0B434316
	v_mul_f32_e32 v162, v22, v162                              // 000000006134: 0B454516
	v_mul_f32_e32 v163, v22, v163                              // 000000006138: 0B474716
	v_cvt_pk_fp8_f32 v136, v160, v161                          // 00000000613C: D2A20088 000343A0
	v_cvt_pk_fp8_f32 v136, v162, v163 op_sel:[0,0,1]           // 000000006144: D2A24088 000347A2
	v_mul_f32_e32 v164, v23, v164                              // 00000000614C: 0B494917
	v_mul_f32_e32 v165, v23, v165                              // 000000006150: 0B4B4B17
	v_mul_f32_e32 v166, v23, v166                              // 000000006154: 0B4D4D17
	v_mul_f32_e32 v167, v23, v167                              // 000000006158: 0B4F4F17
	v_cvt_pk_fp8_f32 v137, v164, v165                          // 00000000615C: D2A20089 00034BA4
	v_cvt_pk_fp8_f32 v137, v166, v167 op_sel:[0,0,1]           // 000000006164: D2A24089 00034FA6
	v_mul_f32_e32 v168, v22, v168                              // 00000000616C: 0B515116
	v_mul_f32_e32 v169, v22, v169                              // 000000006170: 0B535316
	v_mul_f32_e32 v170, v22, v170                              // 000000006174: 0B555516
	v_mul_f32_e32 v171, v22, v171                              // 000000006178: 0B575716
	v_cvt_pk_fp8_f32 v138, v168, v169                          // 00000000617C: D2A2008A 000353A8
	v_cvt_pk_fp8_f32 v138, v170, v171 op_sel:[0,0,1]           // 000000006184: D2A2408A 000357AA
	v_mul_f32_e32 v172, v23, v172                              // 00000000618C: 0B595917
	v_mul_f32_e32 v173, v23, v173                              // 000000006190: 0B5B5B17
	v_mul_f32_e32 v174, v23, v174                              // 000000006194: 0B5D5D17
	v_mul_f32_e32 v175, v23, v175                              // 000000006198: 0B5F5F17
	v_cvt_pk_fp8_f32 v139, v172, v173                          // 00000000619C: D2A2008B 00035BAC
	v_cvt_pk_fp8_f32 v139, v174, v175 op_sel:[0,0,1]           // 0000000061A4: D2A2408B 00035FAE
	v_mul_f32_e32 v176, v22, v176                              // 0000000061AC: 0B616116
	v_mul_f32_e32 v177, v22, v177                              // 0000000061B0: 0B636316
	v_mul_f32_e32 v178, v22, v178                              // 0000000061B4: 0B656516
	v_mul_f32_e32 v179, v22, v179                              // 0000000061B8: 0B676716
	v_cvt_pk_fp8_f32 v140, v176, v177                          // 0000000061BC: D2A2008C 000363B0
	v_cvt_pk_fp8_f32 v140, v178, v179 op_sel:[0,0,1]           // 0000000061C4: D2A2408C 000367B2
	v_mul_f32_e32 v180, v23, v180                              // 0000000061CC: 0B696917
	v_mul_f32_e32 v181, v23, v181                              // 0000000061D0: 0B6B6B17
	v_mul_f32_e32 v182, v23, v182                              // 0000000061D4: 0B6D6D17
	v_mul_f32_e32 v183, v23, v183                              // 0000000061D8: 0B6F6F17
	v_cvt_pk_fp8_f32 v141, v180, v181                          // 0000000061DC: D2A2008D 00036BB4
	v_cvt_pk_fp8_f32 v141, v182, v183 op_sel:[0,0,1]           // 0000000061E4: D2A2408D 00036FB6
	v_rcp_f32_e32 v24, v22                                     // 0000000061EC: 7E304516
	v_rcp_f32_e32 v25, v23                                     // 0000000061F0: 7E324517
	v_lshrrev_b32_e32 v52, 5, v0                               // 0000000061F4: 20680085
	v_lshlrev_b32_e32 v53, 5, v52                              // 0000000061F8: 246A6885
	v_and_b32_e32 v52, 31, v0                                  // 0000000061FC: 2668009F
	v_lshrrev_b32_e32 v54, 4, v52                              // 000000006200: 206C6884
	v_add_u32_e32 v53, v54, v53                                // 000000006204: 686A6B36
	v_and_b32_e32 v52, 15, v0                                  // 000000006208: 2668008F
	v_lshlrev_b32_e32 v52, 1, v52                              // 00000000620C: 24686881
	v_add_u32_e32 v53, v52, v53                                // 000000006210: 686A6B34
	v_lshlrev_b32_e32 v52, 2, v53                              // 000000006214: 24686A82
	s_mul_i32 s60, 0x100, s7                                   // 000000006218: 923C07FF 00000100
	v_add_u32_e64 v52, v52, s60                                // 000000006220: D1340034 00007934
	ds_write_b32 v52, v128 offset:18688                        // 000000006228: D81A4900 00008034
	ds_write_b32 v52, v129 offset:25856                        // 000000006230: D81A6500 00008134
	ds_write_b32 v52, v130 offset:19712                        // 000000006238: D81A4D00 00008234
	ds_write_b32 v52, v131 offset:26880                        // 000000006240: D81A6900 00008334
	ds_write_b32 v52, v132 offset:20736                        // 000000006248: D81A5100 00008434
	ds_write_b32 v52, v133 offset:27904                        // 000000006250: D81A6D00 00008534
	ds_write_b32 v52, v134 offset:21760                        // 000000006258: D81A5500 00008634
	ds_write_b32 v52, v135 offset:28928                        // 000000006260: D81A7100 00008734
	ds_write_b32 v52, v136 offset:22784                        // 000000006268: D81A5900 00008834
	ds_write_b32 v52, v137 offset:29952                        // 000000006270: D81A7500 00008934
	ds_write_b32 v52, v138 offset:23808                        // 000000006278: D81A5D00 00008A34
	ds_write_b32 v52, v139 offset:30976                        // 000000006280: D81A7900 00008B34
	ds_write_b32 v52, v140 offset:24832                        // 000000006288: D81A6100 00008C34
	ds_write_b32 v52, v141 offset:32000                        // 000000006290: D81A7D00 00008D34
	s_waitcnt lgkmcnt(0)                                       // 000000006298: BF8CC07F
	s_barrier                                                  // 00000000629C: BF8A0000
	v_lshrrev_b32_e32 v52, 4, v0                               // 0000000062A0: 20680084
	v_lshlrev_b32_e32 v53, 6, v52                              // 0000000062A4: 246A6886
	v_and_b32_e32 v52, 15, v0                                  // 0000000062A8: 2668008F
	v_lshlrev_b32_e32 v52, 1, v52                              // 0000000062AC: 24686881
	v_add_u32_e32 v53, v52, v53                                // 0000000062B0: 686A6B34
	v_lshlrev_b32_e32 v52, 2, v53                              // 0000000062B4: 24686A82
	ds_read_b64 v[128:129], v52 offset:18688                   // 0000000062B8: D8EC4900 80000034
	ds_read_b64 v[130:131], v52 offset:18816                   // 0000000062C0: D8EC4980 82000034
	ds_read_b64 v[132:133], v52 offset:19712                   // 0000000062C8: D8EC4D00 84000034
	ds_read_b64 v[134:135], v52 offset:19840                   // 0000000062D0: D8EC4D80 86000034
	ds_read_b64 v[136:137], v52 offset:20736                   // 0000000062D8: D8EC5100 88000034
	ds_read_b64 v[138:139], v52 offset:20864                   // 0000000062E0: D8EC5180 8A000034
	ds_read_b64 v[140:141], v52 offset:21760                   // 0000000062E8: D8EC5500 8C000034
	ds_read_b64 v[142:143], v52 offset:21888                   // 0000000062F0: D8EC5580 8E000034
	ds_read_b64 v[144:145], v52 offset:22784                   // 0000000062F8: D8EC5900 90000034
	ds_read_b64 v[146:147], v52 offset:22912                   // 000000006300: D8EC5980 92000034
	ds_read_b64 v[148:149], v52 offset:23808                   // 000000006308: D8EC5D00 94000034
	ds_read_b64 v[150:151], v52 offset:23936                   // 000000006310: D8EC5D80 96000034
	ds_read_b64 v[152:153], v52 offset:24832                   // 000000006318: D8EC6100 98000034
	ds_read_b64 v[154:155], v52 offset:24960                   // 000000006320: D8EC6180 9A000034
	ds_read_b64 v[156:157], v52 offset:25856                   // 000000006328: D8EC6500 9C000034
	ds_read_b64 v[158:159], v52 offset:25984                   // 000000006330: D8EC6580 9E000034
	ds_read_b64 v[160:161], v52 offset:26880                   // 000000006338: D8EC6900 A0000034
	ds_read_b64 v[162:163], v52 offset:27008                   // 000000006340: D8EC6980 A2000034
	ds_read_b64 v[164:165], v52 offset:27904                   // 000000006348: D8EC6D00 A4000034
	ds_read_b64 v[166:167], v52 offset:28032                   // 000000006350: D8EC6D80 A6000034
	ds_read_b64 v[168:169], v52 offset:28928                   // 000000006358: D8EC7100 A8000034
	ds_read_b64 v[170:171], v52 offset:29056                   // 000000006360: D8EC7180 AA000034
	ds_read_b64 v[172:173], v52 offset:29952                   // 000000006368: D8EC7500 AC000034
	ds_read_b64 v[174:175], v52 offset:30080                   // 000000006370: D8EC7580 AE000034
	ds_read_b64 v[176:177], v52 offset:30976                   // 000000006378: D8EC7900 B0000034
	ds_read_b64 v[178:179], v52 offset:31104                   // 000000006380: D8EC7980 B2000034
	ds_read_b64 v[180:181], v52 offset:32000                   // 000000006388: D8EC7D00 B4000034
	ds_read_b64 v[182:183], v52 offset:32128                   // 000000006390: D8EC7D80 B6000034
	s_add_u32 s12, s56, s12                                    // 000000006398: 800C0C38
	s_addc_u32 s13, 0, s13                                     // 00000000639C: 820D0D80
	s_add_u32 s16, s79, s16                                    // 0000000063A0: 8010104F
	s_addc_u32 s17, 0, s17                                     // 0000000063A4: 82111180
	s_waitcnt lgkmcnt(0)                                       // 0000000063A8: BF8CC07F
	s_barrier                                                  // 0000000063AC: BF8A0000
	v_mov_b32_e32 v184, 0                                      // 0000000063B0: 7F700280
	v_mov_b32_e32 v216, 0                                      // 0000000063B4: 7FB00280
	v_mov_b32_e32 v185, 0                                      // 0000000063B8: 7F720280
	v_mov_b32_e32 v217, 0                                      // 0000000063BC: 7FB20280
	v_mov_b32_e32 v186, 0                                      // 0000000063C0: 7F740280
	v_mov_b32_e32 v218, 0                                      // 0000000063C4: 7FB40280
	v_mov_b32_e32 v187, 0                                      // 0000000063C8: 7F760280
	v_mov_b32_e32 v219, 0                                      // 0000000063CC: 7FB60280
	v_mov_b32_e32 v188, 0                                      // 0000000063D0: 7F780280
	v_mov_b32_e32 v220, 0                                      // 0000000063D4: 7FB80280
	v_mov_b32_e32 v189, 0                                      // 0000000063D8: 7F7A0280
	v_mov_b32_e32 v221, 0                                      // 0000000063DC: 7FBA0280
	v_mov_b32_e32 v190, 0                                      // 0000000063E0: 7F7C0280
	v_mov_b32_e32 v222, 0                                      // 0000000063E4: 7FBC0280
	v_mov_b32_e32 v191, 0                                      // 0000000063E8: 7F7E0280
	v_mov_b32_e32 v223, 0                                      // 0000000063EC: 7FBE0280
	v_mov_b32_e32 v192, 0                                      // 0000000063F0: 7F800280
	v_mov_b32_e32 v224, 0                                      // 0000000063F4: 7FC00280
	v_mov_b32_e32 v193, 0                                      // 0000000063F8: 7F820280
	v_mov_b32_e32 v225, 0                                      // 0000000063FC: 7FC20280
	v_mov_b32_e32 v194, 0                                      // 000000006400: 7F840280
	v_mov_b32_e32 v226, 0                                      // 000000006404: 7FC40280
	v_mov_b32_e32 v195, 0                                      // 000000006408: 7F860280
	v_mov_b32_e32 v227, 0                                      // 00000000640C: 7FC60280
	v_mov_b32_e32 v196, 0                                      // 000000006410: 7F880280
	v_mov_b32_e32 v228, 0                                      // 000000006414: 7FC80280
	v_mov_b32_e32 v197, 0                                      // 000000006418: 7F8A0280
	v_mov_b32_e32 v229, 0                                      // 00000000641C: 7FCA0280
	v_mov_b32_e32 v198, 0                                      // 000000006420: 7F8C0280
	v_mov_b32_e32 v230, 0                                      // 000000006424: 7FCC0280
	v_mov_b32_e32 v199, 0                                      // 000000006428: 7F8E0280
	v_mov_b32_e32 v231, 0                                      // 00000000642C: 7FCE0280
	ds_write_b64 v3, v[184:185] offset:18688                   // 000000006430: D89A4900 0000B803
	ds_write_b64 v3, v[186:187] offset:27392                   // 000000006438: D89A6B00 0000BA03
	ds_write_b64 v3, v[188:189] offset:20864                   // 000000006440: D89A5180 0000BC03
	ds_write_b64 v3, v[190:191] offset:29568                   // 000000006448: D89A7380 0000BE03
	ds_write_b64 v3, v[192:193] offset:23040                   // 000000006450: D89A5A00 0000C003
	ds_write_b64 v3, v[194:195] offset:31744                   // 000000006458: D89A7C00 0000C203
	ds_write_b64 v3, v[196:197] offset:25216                   // 000000006460: D89A6280 0000C403
	ds_write_b64 v3, v[198:199] offset:33920                   // 000000006468: D89A8480 0000C603
	s_mov_b32 s80, 0                                           // 000000006470: BED00080
	s_waitcnt vmcnt(0) expcnt(0) lgkmcnt(0)                    // 000000006474: BF8C0000

0000000000006478 <label_0D9E>:
	s_waitcnt vmcnt(25) lgkmcnt(0)                             // 000000006478: BF8C4079
	s_barrier                                                  // 00000000647C: BF8A0000
	v_mfma_f32_16x16x32_fp8_fp8 v[184:187], a[0:1], v[128:129], 0// 000000006480: D3F300B8 0A030100
	ds_read_b32 v64, v4 offset:18688                           // 000000006488: D86C4900 40000004
	ds_read_b32 v65, v4 offset:23040                           // 000000006490: D86C5A00 41000004
	v_mfma_f32_16x16x32_fp8_fp8 v[184:187], a[2:3], v[130:131], v[184:187]// 000000006498: D3F300B8 0EE30502
	buffer_load_dwordx4 a[112:115], v41, s[12:15], 0 offen     // 0000000064A0: E05C1000 80837029
	v_mfma_f32_16x16x32_fp8_fp8 v[188:191], a[0:1], v[156:157], 0// 0000000064A8: D3F300BC 0A033900
	ds_read_b32 v66, v4 offset:18720                           // 0000000064B0: D86C4920 42000004
	ds_read_b32 v67, v4 offset:23072                           // 0000000064B8: D86C5A20 43000004
	v_mfma_f32_16x16x32_fp8_fp8 v[188:191], a[2:3], v[158:159], v[188:191]// 0000000064C0: D3F300BC 0EF33D02
	v_mfma_f32_16x16x32_fp8_fp8 v[192:195], a[4:5], v[128:129], 0// 0000000064C8: D3F300C0 0A030104
	ds_read_b32 v68, v4 offset:18752                           // 0000000064D0: D86C4940 44000004
	ds_read_b32 v69, v4 offset:23104                           // 0000000064D8: D86C5A40 45000004
	v_mfma_f32_16x16x32_fp8_fp8 v[192:195], a[6:7], v[130:131], v[192:195]// 0000000064E0: D3F300C0 0F030506
	buffer_load_dwordx4 a[116:119], v42, s[12:15], 0 offen     // 0000000064E8: E05C1000 8083742A
	v_mfma_f32_16x16x32_fp8_fp8 v[196:199], a[4:5], v[156:157], 0// 0000000064F0: D3F300C4 0A033904
	ds_read_b32 v70, v4 offset:18784                           // 0000000064F8: D86C4960 46000004
	ds_read_b32 v71, v4 offset:23136                           // 000000006500: D86C5A60 47000004
	v_mfma_f32_16x16x32_fp8_fp8 v[196:199], a[6:7], v[158:159], v[196:199]// 000000006508: D3F300C4 0F133D06
	v_mfma_f32_16x16x32_fp8_fp8 v[200:203], a[8:9], v[128:129], 0// 000000006510: D3F300C8 0A030108
	ds_read_b32 v72, v4 offset:27392                           // 000000006518: D86C6B00 48000004
	ds_read_b32 v73, v4 offset:31744                           // 000000006520: D86C7C00 49000004
	v_mfma_f32_16x16x32_fp8_fp8 v[200:203], a[10:11], v[130:131], v[200:203]// 000000006528: D3F300C8 0F23050A
	buffer_load_dwordx4 a[120:123], v43, s[12:15], 0 offen     // 000000006530: E05C1000 8083782B
	v_mfma_f32_16x16x32_fp8_fp8 v[204:207], a[8:9], v[156:157], 0// 000000006538: D3F300CC 0A033908
	ds_read_b32 v74, v4 offset:27424                           // 000000006540: D86C6B20 4A000004
	ds_read_b32 v75, v4 offset:31776                           // 000000006548: D86C7C20 4B000004
	v_mfma_f32_16x16x32_fp8_fp8 v[204:207], a[10:11], v[158:159], v[204:207]// 000000006550: D3F300CC 0F333D0A
	v_mfma_f32_16x16x32_fp8_fp8 v[208:211], a[12:13], v[128:129], 0// 000000006558: D3F300D0 0A03010C
	ds_read_b32 v76, v4 offset:27456                           // 000000006560: D86C6B40 4C000004
	ds_read_b32 v77, v4 offset:31808                           // 000000006568: D86C7C40 4D000004
	v_mfma_f32_16x16x32_fp8_fp8 v[208:211], a[14:15], v[130:131], v[208:211]// 000000006570: D3F300D0 0F43050E
	buffer_load_dwordx4 a[124:127], v44, s[12:15], 0 offen     // 000000006578: E05C1000 80837C2C
	s_add_u32 s12, s78, s12                                    // 000000006580: 800C0C4E
	s_addc_u32 s13, 0, s13                                     // 000000006584: 820D0D80
	v_mfma_f32_16x16x32_fp8_fp8 v[212:215], a[12:13], v[156:157], 0// 000000006588: D3F300D4 0A03390C
	ds_read_b32 v78, v4 offset:27488                           // 000000006590: D86C6B60 4E000004
	ds_read_b32 v79, v4 offset:31840                           // 000000006598: D86C7C60 4F000004
	v_mfma_f32_16x16x32_fp8_fp8 v[212:215], a[14:15], v[158:159], v[212:215]// 0000000065A0: D3F300D4 0F533D0E
	s_waitcnt vmcnt(25)                                        // 0000000065A8: BF8C4F79
	v_mfma_f32_16x16x32_fp8_fp8 v[184:187], a[16:17], v[132:133], v[184:187]// 0000000065AC: D3F300B8 0EE30910
	v_mfma_f32_16x16x32_fp8_fp8 v[184:187], a[18:19], v[134:135], v[184:187]// 0000000065B4: D3F300B8 0EE30D12
	buffer_load_dwordx4 a[128:131], v41, s[12:15], 0 offen     // 0000000065BC: E05C1000 80838029
	v_mfma_f32_16x16x32_fp8_fp8 v[188:191], a[16:17], v[160:161], v[188:191]// 0000000065C4: D3F300BC 0EF34110
	v_mfma_f32_16x16x32_fp8_fp8 v[188:191], a[18:19], v[162:163], v[188:191]// 0000000065CC: D3F300BC 0EF34512
	v_mfma_f32_16x16x32_fp8_fp8 v[192:195], a[20:21], v[132:133], v[192:195]// 0000000065D4: D3F300C0 0F030914
	v_mfma_f32_16x16x32_fp8_fp8 v[192:195], a[22:23], v[134:135], v[192:195]// 0000000065DC: D3F300C0 0F030D16
	buffer_load_dwordx4 a[132:135], v42, s[12:15], 0 offen     // 0000000065E4: E05C1000 8083842A
	v_mfma_f32_16x16x32_fp8_fp8 v[196:199], a[20:21], v[160:161], v[196:199]// 0000000065EC: D3F300C4 0F134114
	v_mfma_f32_16x16x32_fp8_fp8 v[196:199], a[22:23], v[162:163], v[196:199]// 0000000065F4: D3F300C4 0F134516
	v_mfma_f32_16x16x32_fp8_fp8 v[200:203], a[24:25], v[132:133], v[200:203]// 0000000065FC: D3F300C8 0F230918
	v_mfma_f32_16x16x32_fp8_fp8 v[200:203], a[26:27], v[134:135], v[200:203]// 000000006604: D3F300C8 0F230D1A
	buffer_load_dwordx4 a[136:139], v43, s[12:15], 0 offen     // 00000000660C: E05C1000 8083882B
	v_mfma_f32_16x16x32_fp8_fp8 v[204:207], a[24:25], v[160:161], v[204:207]// 000000006614: D3F300CC 0F334118
	v_mfma_f32_16x16x32_fp8_fp8 v[204:207], a[26:27], v[162:163], v[204:207]// 00000000661C: D3F300CC 0F33451A
	v_mfma_f32_16x16x32_fp8_fp8 v[208:211], a[28:29], v[132:133], v[208:211]// 000000006624: D3F300D0 0F43091C
	v_mfma_f32_16x16x32_fp8_fp8 v[208:211], a[30:31], v[134:135], v[208:211]// 00000000662C: D3F300D0 0F430D1E
	buffer_load_dwordx4 a[140:143], v44, s[12:15], 0 offen     // 000000006634: E05C1000 80838C2C
	s_add_u32 s12, s78, s12                                    // 00000000663C: 800C0C4E
	s_addc_u32 s13, 0, s13                                     // 000000006640: 820D0D80
	v_mfma_f32_16x16x32_fp8_fp8 v[212:215], a[28:29], v[160:161], v[212:215]// 000000006644: D3F300D4 0F53411C
	v_mfma_f32_16x16x32_fp8_fp8 v[212:215], a[30:31], v[162:163], v[212:215]// 00000000664C: D3F300D4 0F53451E
	s_waitcnt vmcnt(25)                                        // 000000006654: BF8C4F79
	v_mfma_f32_16x16x32_fp8_fp8 v[184:187], a[32:33], v[136:137], v[184:187]// 000000006658: D3F300B8 0EE31120
	ds_write_b64 v3, v[216:217] offset:36096                   // 000000006660: D89A8D00 0000D803
	v_mfma_f32_16x16x32_fp8_fp8 v[184:187], a[34:35], v[138:139], v[184:187]// 000000006668: D3F300B8 0EE31522
	buffer_load_dwordx4 a[144:147], v41, s[12:15], 0 offen     // 000000006670: E05C1000 80839029
	v_mfma_f32_16x16x32_fp8_fp8 v[188:191], a[32:33], v[164:165], v[188:191]// 000000006678: D3F300BC 0EF34920
	ds_write_b64 v3, v[218:219] offset:44800                   // 000000006680: D89AAF00 0000DA03
	v_mfma_f32_16x16x32_fp8_fp8 v[188:191], a[34:35], v[166:167], v[188:191]// 000000006688: D3F300BC 0EF34D22
	v_mfma_f32_16x16x32_fp8_fp8 v[192:195], a[36:37], v[136:137], v[192:195]// 000000006690: D3F300C0 0F031124
	ds_write_b64 v3, v[220:221] offset:38272                   // 000000006698: D89A9580 0000DC03
	v_mfma_f32_16x16x32_fp8_fp8 v[192:195], a[38:39], v[138:139], v[192:195]// 0000000066A0: D3F300C0 0F031526
	buffer_load_dwordx4 a[148:151], v42, s[12:15], 0 offen     // 0000000066A8: E05C1000 8083942A
	v_mfma_f32_16x16x32_fp8_fp8 v[196:199], a[36:37], v[164:165], v[196:199]// 0000000066B0: D3F300C4 0F134924
	ds_write_b64 v3, v[222:223] offset:46976                   // 0000000066B8: D89AB780 0000DE03
	v_mfma_f32_16x16x32_fp8_fp8 v[196:199], a[38:39], v[166:167], v[196:199]// 0000000066C0: D3F300C4 0F134D26
	v_mfma_f32_16x16x32_fp8_fp8 v[200:203], a[40:41], v[136:137], v[200:203]// 0000000066C8: D3F300C8 0F231128
	ds_write_b64 v3, v[224:225] offset:40448                   // 0000000066D0: D89A9E00 0000E003
	v_mfma_f32_16x16x32_fp8_fp8 v[200:203], a[42:43], v[138:139], v[200:203]// 0000000066D8: D3F300C8 0F23152A
	buffer_load_dwordx4 a[152:155], v43, s[12:15], 0 offen     // 0000000066E0: E05C1000 8083982B
	v_mfma_f32_16x16x32_fp8_fp8 v[204:207], a[40:41], v[164:165], v[204:207]// 0000000066E8: D3F300CC 0F334928
	ds_write_b64 v3, v[226:227] offset:49152                   // 0000000066F0: D89AC000 0000E203
	v_mfma_f32_16x16x32_fp8_fp8 v[204:207], a[42:43], v[166:167], v[204:207]// 0000000066F8: D3F300CC 0F334D2A
	v_mfma_f32_16x16x32_fp8_fp8 v[208:211], a[44:45], v[136:137], v[208:211]// 000000006700: D3F300D0 0F43112C
	ds_write_b64 v3, v[228:229] offset:42624                   // 000000006708: D89AA680 0000E403
	v_mfma_f32_16x16x32_fp8_fp8 v[208:211], a[46:47], v[138:139], v[208:211]// 000000006710: D3F300D0 0F43152E
	buffer_load_dwordx4 a[156:159], v44, s[12:15], 0 offen     // 000000006718: E05C1000 80839C2C
	s_add_u32 s12, s78, s12                                    // 000000006720: 800C0C4E
	s_addc_u32 s13, 0, s13                                     // 000000006724: 820D0D80
	v_mfma_f32_16x16x32_fp8_fp8 v[212:215], a[44:45], v[164:165], v[212:215]// 000000006728: D3F300D4 0F53492C
	ds_write_b64 v3, v[230:231] offset:51328                   // 000000006730: D89AC880 0000E603
	v_mfma_f32_16x16x32_fp8_fp8 v[212:215], a[46:47], v[166:167], v[212:215]// 000000006738: D3F300D4 0F534D2E
	s_waitcnt vmcnt(25)                                        // 000000006740: BF8C4F79
	v_mfma_f32_16x16x32_fp8_fp8 v[184:187], a[48:49], v[140:141], v[184:187]// 000000006744: D3F300B8 0EE31930
	v_mfma_f32_16x16x32_fp8_fp8 v[184:187], a[50:51], v[142:143], v[184:187]// 00000000674C: D3F300B8 0EE31D32
	buffer_load_dwordx4 a[160:163], v41, s[12:15], 0 offen     // 000000006754: E05C1000 8083A029
	v_mfma_f32_16x16x32_fp8_fp8 v[188:191], a[48:49], v[168:169], v[188:191]// 00000000675C: D3F300BC 0EF35130
	v_mfma_f32_16x16x32_fp8_fp8 v[188:191], a[50:51], v[170:171], v[188:191]// 000000006764: D3F300BC 0EF35532
	v_mfma_f32_16x16x32_fp8_fp8 v[192:195], a[52:53], v[140:141], v[192:195]// 00000000676C: D3F300C0 0F031934
	v_mfma_f32_16x16x32_fp8_fp8 v[192:195], a[54:55], v[142:143], v[192:195]// 000000006774: D3F300C0 0F031D36
	buffer_load_dwordx4 a[164:167], v42, s[12:15], 0 offen     // 00000000677C: E05C1000 8083A42A
	v_mfma_f32_16x16x32_fp8_fp8 v[196:199], a[52:53], v[168:169], v[196:199]// 000000006784: D3F300C4 0F135134
	v_mfma_f32_16x16x32_fp8_fp8 v[196:199], a[54:55], v[170:171], v[196:199]// 00000000678C: D3F300C4 0F135536
	v_mfma_f32_16x16x32_fp8_fp8 v[200:203], a[56:57], v[140:141], v[200:203]// 000000006794: D3F300C8 0F231938
	v_mfma_f32_16x16x32_fp8_fp8 v[200:203], a[58:59], v[142:143], v[200:203]// 00000000679C: D3F300C8 0F231D3A
	buffer_load_dwordx4 a[168:171], v43, s[12:15], 0 offen     // 0000000067A4: E05C1000 8083A82B
	v_mfma_f32_16x16x32_fp8_fp8 v[204:207], a[56:57], v[168:169], v[204:207]// 0000000067AC: D3F300CC 0F335138
	v_mfma_f32_16x16x32_fp8_fp8 v[204:207], a[58:59], v[170:171], v[204:207]// 0000000067B4: D3F300CC 0F33553A
	v_mfma_f32_16x16x32_fp8_fp8 v[208:211], a[60:61], v[140:141], v[208:211]// 0000000067BC: D3F300D0 0F43193C
	v_mfma_f32_16x16x32_fp8_fp8 v[208:211], a[62:63], v[142:143], v[208:211]// 0000000067C4: D3F300D0 0F431D3E
	buffer_load_dwordx4 a[172:175], v44, s[12:15], 0 offen     // 0000000067CC: E05C1000 8083AC2C
	s_add_u32 s12, s78, s12                                    // 0000000067D4: 800C0C4E
	s_addc_u32 s13, 0, s13                                     // 0000000067D8: 820D0D80
	v_mfma_f32_16x16x32_fp8_fp8 v[212:215], a[60:61], v[168:169], v[212:215]// 0000000067DC: D3F300D4 0F53513C
	v_mfma_f32_16x16x32_fp8_fp8 v[212:215], a[62:63], v[170:171], v[212:215]// 0000000067E4: D3F300D4 0F53553E
	s_waitcnt vmcnt(25)                                        // 0000000067EC: BF8C4F79
	v_mfma_f32_16x16x32_fp8_fp8 v[184:187], a[64:65], v[144:145], v[184:187]// 0000000067F0: D3F300B8 0EE32140
	v_mfma_f32_16x16x32_fp8_fp8 v[184:187], a[66:67], v[146:147], v[184:187]// 0000000067F8: D3F300B8 0EE32542
	buffer_load_dwordx4 a[176:179], v41, s[12:15], 0 offen     // 000000006800: E05C1000 8083B029
	v_mfma_f32_16x16x32_fp8_fp8 v[188:191], a[64:65], v[172:173], v[188:191]// 000000006808: D3F300BC 0EF35940
	v_mfma_f32_16x16x32_fp8_fp8 v[188:191], a[66:67], v[174:175], v[188:191]// 000000006810: D3F300BC 0EF35D42
	v_mfma_f32_16x16x32_fp8_fp8 v[192:195], a[68:69], v[144:145], v[192:195]// 000000006818: D3F300C0 0F032144
	v_mfma_f32_16x16x32_fp8_fp8 v[192:195], a[70:71], v[146:147], v[192:195]// 000000006820: D3F300C0 0F032546
	buffer_load_dwordx4 a[180:183], v42, s[12:15], 0 offen     // 000000006828: E05C1000 8083B42A
	v_mfma_f32_16x16x32_fp8_fp8 v[196:199], a[68:69], v[172:173], v[196:199]// 000000006830: D3F300C4 0F135944
	v_mfma_f32_16x16x32_fp8_fp8 v[196:199], a[70:71], v[174:175], v[196:199]// 000000006838: D3F300C4 0F135D46
	v_mfma_f32_16x16x32_fp8_fp8 v[200:203], a[72:73], v[144:145], v[200:203]// 000000006840: D3F300C8 0F232148
	v_mfma_f32_16x16x32_fp8_fp8 v[200:203], a[74:75], v[146:147], v[200:203]// 000000006848: D3F300C8 0F23254A
	buffer_load_dwordx4 a[184:187], v43, s[12:15], 0 offen     // 000000006850: E05C1000 8083B82B
	v_mfma_f32_16x16x32_fp8_fp8 v[204:207], a[72:73], v[172:173], v[204:207]// 000000006858: D3F300CC 0F335948
	v_mfma_f32_16x16x32_fp8_fp8 v[204:207], a[74:75], v[174:175], v[204:207]// 000000006860: D3F300CC 0F335D4A
	v_mfma_f32_16x16x32_fp8_fp8 v[208:211], a[76:77], v[144:145], v[208:211]// 000000006868: D3F300D0 0F43214C
	v_mfma_f32_16x16x32_fp8_fp8 v[208:211], a[78:79], v[146:147], v[208:211]// 000000006870: D3F300D0 0F43254E
	buffer_load_dwordx4 a[188:191], v44, s[12:15], 0 offen     // 000000006878: E05C1000 8083BC2C
	s_add_u32 s12, s78, s12                                    // 000000006880: 800C0C4E
	s_addc_u32 s13, 0, s13                                     // 000000006884: 820D0D80
	v_mfma_f32_16x16x32_fp8_fp8 v[212:215], a[76:77], v[172:173], v[212:215]// 000000006888: D3F300D4 0F53594C
	v_mfma_f32_16x16x32_fp8_fp8 v[212:215], a[78:79], v[174:175], v[212:215]// 000000006890: D3F300D4 0F535D4E
	s_waitcnt vmcnt(25)                                        // 000000006898: BF8C4F79
	v_mfma_f32_16x16x32_fp8_fp8 v[184:187], a[80:81], v[148:149], v[184:187]// 00000000689C: D3F300B8 0EE32950
	v_mfma_f32_16x16x32_fp8_fp8 v[184:187], a[82:83], v[150:151], v[184:187]// 0000000068A4: D3F300B8 0EE32D52
	buffer_load_dwordx4 a[192:195], v41, s[12:15], 0 offen     // 0000000068AC: E05C1000 8083C029
	v_mfma_f32_16x16x32_fp8_fp8 v[188:191], a[80:81], v[176:177], v[188:191]// 0000000068B4: D3F300BC 0EF36150
	v_mfma_f32_16x16x32_fp8_fp8 v[188:191], a[82:83], v[178:179], v[188:191]// 0000000068BC: D3F300BC 0EF36552
	v_mfma_f32_16x16x32_fp8_fp8 v[192:195], a[84:85], v[148:149], v[192:195]// 0000000068C4: D3F300C0 0F032954
	v_mfma_f32_16x16x32_fp8_fp8 v[192:195], a[86:87], v[150:151], v[192:195]// 0000000068CC: D3F300C0 0F032D56
	buffer_load_dwordx4 a[196:199], v42, s[12:15], 0 offen     // 0000000068D4: E05C1000 8083C42A
	v_mfma_f32_16x16x32_fp8_fp8 v[196:199], a[84:85], v[176:177], v[196:199]// 0000000068DC: D3F300C4 0F136154
	v_mfma_f32_16x16x32_fp8_fp8 v[196:199], a[86:87], v[178:179], v[196:199]// 0000000068E4: D3F300C4 0F136556
	v_mfma_f32_16x16x32_fp8_fp8 v[200:203], a[88:89], v[148:149], v[200:203]// 0000000068EC: D3F300C8 0F232958
	v_mfma_f32_16x16x32_fp8_fp8 v[200:203], a[90:91], v[150:151], v[200:203]// 0000000068F4: D3F300C8 0F232D5A
	buffer_load_dwordx4 a[200:203], v43, s[12:15], 0 offen     // 0000000068FC: E05C1000 8083C82B
	v_mfma_f32_16x16x32_fp8_fp8 v[204:207], a[88:89], v[176:177], v[204:207]// 000000006904: D3F300CC 0F336158
	v_mfma_f32_16x16x32_fp8_fp8 v[204:207], a[90:91], v[178:179], v[204:207]// 00000000690C: D3F300CC 0F33655A
	v_mfma_f32_16x16x32_fp8_fp8 v[208:211], a[92:93], v[148:149], v[208:211]// 000000006914: D3F300D0 0F43295C
	v_mfma_f32_16x16x32_fp8_fp8 v[208:211], a[94:95], v[150:151], v[208:211]// 00000000691C: D3F300D0 0F432D5E
	buffer_load_dwordx4 a[204:207], v44, s[12:15], 0 offen     // 000000006924: E05C1000 8083CC2C
	s_add_u32 s12, s78, s12                                    // 00000000692C: 800C0C4E
	s_addc_u32 s13, 0, s13                                     // 000000006930: 820D0D80
	v_mfma_f32_16x16x32_fp8_fp8 v[212:215], a[92:93], v[176:177], v[212:215]// 000000006934: D3F300D4 0F53615C
	v_mfma_f32_16x16x32_fp8_fp8 v[212:215], a[94:95], v[178:179], v[212:215]// 00000000693C: D3F300D4 0F53655E
	s_waitcnt vmcnt(24)                                        // 000000006944: BF8C4F78
	v_mfma_f32_16x16x32_fp8_fp8 v[184:187], a[96:97], v[152:153], v[184:187]// 000000006948: D3F300B8 0EE33160
	v_mfma_f32_16x16x32_fp8_fp8 v[184:187], a[98:99], v[154:155], v[184:187]// 000000006950: D3F300B8 0EE33562
	buffer_load_dwordx4 a[208:211], v41, s[12:15], 0 offen     // 000000006958: E05C1000 8083D029
	v_mfma_f32_16x16x32_fp8_fp8 v[188:191], a[96:97], v[180:181], v[188:191]// 000000006960: D3F300BC 0EF36960
	v_mfma_f32_16x16x32_fp8_fp8 v[188:191], a[98:99], v[182:183], v[188:191]// 000000006968: D3F300BC 0EF36D62
	buffer_load_dword v13, v5, s[16:19], 0 offen               // 000000006970: E0501000 80040D05
	v_mfma_f32_16x16x32_fp8_fp8 v[192:195], a[100:101], v[152:153], v[192:195]// 000000006978: D3F300C0 0F033164
	v_mfma_f32_16x16x32_fp8_fp8 v[192:195], a[102:103], v[154:155], v[192:195]// 000000006980: D3F300C0 0F033566
	buffer_load_dwordx4 a[212:215], v42, s[12:15], 0 offen     // 000000006988: E05C1000 8083D42A
	v_mfma_f32_16x16x32_fp8_fp8 v[196:199], a[100:101], v[180:181], v[196:199]// 000000006990: D3F300C4 0F136964
	v_mfma_f32_16x16x32_fp8_fp8 v[196:199], a[102:103], v[182:183], v[196:199]// 000000006998: D3F300C4 0F136D66
	v_mfma_f32_16x16x32_fp8_fp8 v[200:203], a[104:105], v[152:153], v[200:203]// 0000000069A0: D3F300C8 0F233168
	v_mfma_f32_16x16x32_fp8_fp8 v[200:203], a[106:107], v[154:155], v[200:203]// 0000000069A8: D3F300C8 0F23356A
	buffer_load_dwordx4 a[216:219], v43, s[12:15], 0 offen     // 0000000069B0: E05C1000 8083D82B
	v_mfma_f32_16x16x32_fp8_fp8 v[204:207], a[104:105], v[180:181], v[204:207]// 0000000069B8: D3F300CC 0F336968
	v_mfma_f32_16x16x32_fp8_fp8 v[204:207], a[106:107], v[182:183], v[204:207]// 0000000069C0: D3F300CC 0F336D6A
	v_mfma_f32_16x16x32_fp8_fp8 v[208:211], a[108:109], v[152:153], v[208:211]// 0000000069C8: D3F300D0 0F43316C
	v_mfma_f32_16x16x32_fp8_fp8 v[208:211], a[110:111], v[154:155], v[208:211]// 0000000069D0: D3F300D0 0F43356E
	buffer_load_dwordx4 a[220:223], v44, s[12:15], 0 offen     // 0000000069D8: E05C1000 8083DC2C
	v_mfma_f32_16x16x32_fp8_fp8 v[212:215], a[108:109], v[180:181], v[212:215]// 0000000069E0: D3F300D4 0F53696C
	v_mfma_f32_16x16x32_fp8_fp8 v[212:215], a[110:111], v[182:183], v[212:215]// 0000000069E8: D3F300D4 0F536D6E
	s_add_u32 s60, 0x200, s80                                  // 0000000069F0: 803C50FF 00000200
	s_cmp_lt_u32 s60, s81                                      // 0000000069F8: BF0A513C
	s_cselect_b32 s56, s56, 0                                  // 0000000069FC: 85388038
	s_cselect_b32 s78, s78, 0                                  // 000000006A00: 854E804E
	s_cselect_b32 s79, s79, 0                                  // 000000006A04: 854F804F
	s_add_u32 s12, s56, s12                                    // 000000006A08: 800C0C38
	s_addc_u32 s13, 0, s13                                     // 000000006A0C: 820D0D80
	s_add_u32 s16, s79, s16                                    // 000000006A10: 8010104F
	s_addc_u32 s17, 0, s17                                     // 000000006A14: 82111180
	v_mul_f32_e32 v184, v24, v184                              // 000000006A18: 0B717118
	v_mul_f32_e32 v185, v24, v185                              // 000000006A1C: 0B737318
	v_mul_f32_e32 v186, v24, v186                              // 000000006A20: 0B757518
	v_mul_f32_e32 v187, v24, v187                              // 000000006A24: 0B777718
	v_mul_f32_dpp v184, v12, v184 row_newbcast:0 row_mask:0xf bank_mask:0xf// 000000006A28: 0B7170FA FF01500C
	v_mul_f32_dpp v185, v12, v185 row_newbcast:1 row_mask:0xf bank_mask:0xf// 000000006A30: 0B7372FA FF01510C
	v_mul_f32_dpp v186, v12, v186 row_newbcast:2 row_mask:0xf bank_mask:0xf// 000000006A38: 0B7574FA FF01520C
	v_mul_f32_dpp v187, v12, v187 row_newbcast:3 row_mask:0xf bank_mask:0xf// 000000006A40: 0B7776FA FF01530C
	v_mul_f32_e32 v184, v20, v184                              // 000000006A48: 0B717114
	v_mul_f32_e32 v185, v20, v185                              // 000000006A4C: 0B737314
	v_mul_f32_e32 v186, v20, v186                              // 000000006A50: 0B757514
	v_mul_f32_e32 v187, v20, v187                              // 000000006A54: 0B777714
	v_mul_f32_e32 v188, v25, v188                              // 000000006A58: 0B797919
	v_mul_f32_e32 v189, v25, v189                              // 000000006A5C: 0B7B7B19
	v_mul_f32_e32 v190, v25, v190                              // 000000006A60: 0B7D7D19
	v_mul_f32_e32 v191, v25, v191                              // 000000006A64: 0B7F7F19
	v_mul_f32_dpp v188, v12, v188 row_newbcast:0 row_mask:0xf bank_mask:0xf// 000000006A68: 0B7978FA FF01500C
	v_mul_f32_dpp v189, v12, v189 row_newbcast:1 row_mask:0xf bank_mask:0xf// 000000006A70: 0B7B7AFA FF01510C
	v_mul_f32_dpp v190, v12, v190 row_newbcast:2 row_mask:0xf bank_mask:0xf// 000000006A78: 0B7D7CFA FF01520C
	v_mul_f32_dpp v191, v12, v191 row_newbcast:3 row_mask:0xf bank_mask:0xf// 000000006A80: 0B7F7EFA FF01530C
	v_mul_f32_e32 v188, v21, v188                              // 000000006A88: 0B797915
	v_mul_f32_e32 v189, v21, v189                              // 000000006A8C: 0B7B7B15
	v_mul_f32_e32 v190, v21, v190                              // 000000006A90: 0B7D7D15
	v_mul_f32_e32 v191, v21, v191                              // 000000006A94: 0B7F7F15
	v_mul_f32_e32 v192, v24, v192                              // 000000006A98: 0B818118
	v_mul_f32_e32 v193, v24, v193                              // 000000006A9C: 0B838318
	v_mul_f32_e32 v194, v24, v194                              // 000000006AA0: 0B858518
	v_mul_f32_e32 v195, v24, v195                              // 000000006AA4: 0B878718
	v_mul_f32_dpp v192, v12, v192 row_newbcast:4 row_mask:0xf bank_mask:0xf// 000000006AA8: 0B8180FA FF01540C
	v_mul_f32_dpp v193, v12, v193 row_newbcast:5 row_mask:0xf bank_mask:0xf// 000000006AB0: 0B8382FA FF01550C
	v_mul_f32_dpp v194, v12, v194 row_newbcast:6 row_mask:0xf bank_mask:0xf// 000000006AB8: 0B8584FA FF01560C
	v_mul_f32_dpp v195, v12, v195 row_newbcast:7 row_mask:0xf bank_mask:0xf// 000000006AC0: 0B8786FA FF01570C
	v_mul_f32_e32 v192, v20, v192                              // 000000006AC8: 0B818114
	v_mul_f32_e32 v193, v20, v193                              // 000000006ACC: 0B838314
	v_mul_f32_e32 v194, v20, v194                              // 000000006AD0: 0B858514
	v_mul_f32_e32 v195, v20, v195                              // 000000006AD4: 0B878714
	v_mul_f32_e32 v196, v25, v196                              // 000000006AD8: 0B898919
	v_mul_f32_e32 v197, v25, v197                              // 000000006ADC: 0B8B8B19
	v_mul_f32_e32 v198, v25, v198                              // 000000006AE0: 0B8D8D19
	v_mul_f32_e32 v199, v25, v199                              // 000000006AE4: 0B8F8F19
	v_mul_f32_dpp v196, v12, v196 row_newbcast:4 row_mask:0xf bank_mask:0xf// 000000006AE8: 0B8988FA FF01540C
	v_mul_f32_dpp v197, v12, v197 row_newbcast:5 row_mask:0xf bank_mask:0xf// 000000006AF0: 0B8B8AFA FF01550C
	v_mul_f32_dpp v198, v12, v198 row_newbcast:6 row_mask:0xf bank_mask:0xf// 000000006AF8: 0B8D8CFA FF01560C
	v_mul_f32_dpp v199, v12, v199 row_newbcast:7 row_mask:0xf bank_mask:0xf// 000000006B00: 0B8F8EFA FF01570C
	v_mul_f32_e32 v196, v21, v196                              // 000000006B08: 0B898915
	v_mul_f32_e32 v197, v21, v197                              // 000000006B0C: 0B8B8B15
	v_mul_f32_e32 v198, v21, v198                              // 000000006B10: 0B8D8D15
	v_mul_f32_e32 v199, v21, v199                              // 000000006B14: 0B8F8F15
	v_mul_f32_e32 v200, v24, v200                              // 000000006B18: 0B919118
	v_mul_f32_e32 v201, v24, v201                              // 000000006B1C: 0B939318
	v_mul_f32_e32 v202, v24, v202                              // 000000006B20: 0B959518
	v_mul_f32_e32 v203, v24, v203                              // 000000006B24: 0B979718
	v_mul_f32_dpp v200, v12, v200 row_newbcast:8 row_mask:0xf bank_mask:0xf// 000000006B28: 0B9190FA FF01580C
	v_mul_f32_dpp v201, v12, v201 row_newbcast:9 row_mask:0xf bank_mask:0xf// 000000006B30: 0B9392FA FF01590C
	v_mul_f32_dpp v202, v12, v202 row_newbcast:10 row_mask:0xf bank_mask:0xf// 000000006B38: 0B9594FA FF015A0C
	v_mul_f32_dpp v203, v12, v203 row_newbcast:11 row_mask:0xf bank_mask:0xf// 000000006B40: 0B9796FA FF015B0C
	v_mul_f32_e32 v200, v20, v200                              // 000000006B48: 0B919114
	v_mul_f32_e32 v201, v20, v201                              // 000000006B4C: 0B939314
	v_mul_f32_e32 v202, v20, v202                              // 000000006B50: 0B959514
	v_mul_f32_e32 v203, v20, v203                              // 000000006B54: 0B979714
	v_mul_f32_e32 v204, v25, v204                              // 000000006B58: 0B999919
	v_mul_f32_e32 v205, v25, v205                              // 000000006B5C: 0B9B9B19
	v_mul_f32_e32 v206, v25, v206                              // 000000006B60: 0B9D9D19
	v_mul_f32_e32 v207, v25, v207                              // 000000006B64: 0B9F9F19
	v_mul_f32_dpp v204, v12, v204 row_newbcast:8 row_mask:0xf bank_mask:0xf// 000000006B68: 0B9998FA FF01580C
	v_mul_f32_dpp v205, v12, v205 row_newbcast:9 row_mask:0xf bank_mask:0xf// 000000006B70: 0B9B9AFA FF01590C
	v_mul_f32_dpp v206, v12, v206 row_newbcast:10 row_mask:0xf bank_mask:0xf// 000000006B78: 0B9D9CFA FF015A0C
	v_mul_f32_dpp v207, v12, v207 row_newbcast:11 row_mask:0xf bank_mask:0xf// 000000006B80: 0B9F9EFA FF015B0C
	v_mul_f32_e32 v204, v21, v204                              // 000000006B88: 0B999915
	v_mul_f32_e32 v205, v21, v205                              // 000000006B8C: 0B9B9B15
	v_mul_f32_e32 v206, v21, v206                              // 000000006B90: 0B9D9D15
	v_mul_f32_e32 v207, v21, v207                              // 000000006B94: 0B9F9F15
	v_mul_f32_e32 v208, v24, v208                              // 000000006B98: 0BA1A118
	v_mul_f32_e32 v209, v24, v209                              // 000000006B9C: 0BA3A318
	v_mul_f32_e32 v210, v24, v210                              // 000000006BA0: 0BA5A518
	v_mul_f32_e32 v211, v24, v211                              // 000000006BA4: 0BA7A718
	v_mul_f32_dpp v208, v12, v208 row_newbcast:12 row_mask:0xf bank_mask:0xf// 000000006BA8: 0BA1A0FA FF015C0C
	v_mul_f32_dpp v209, v12, v209 row_newbcast:13 row_mask:0xf bank_mask:0xf// 000000006BB0: 0BA3A2FA FF015D0C
	v_mul_f32_dpp v210, v12, v210 row_newbcast:14 row_mask:0xf bank_mask:0xf// 000000006BB8: 0BA5A4FA FF015E0C
	v_mul_f32_dpp v211, v12, v211 row_newbcast:15 row_mask:0xf bank_mask:0xf// 000000006BC0: 0BA7A6FA FF015F0C
	v_mul_f32_e32 v208, v20, v208                              // 000000006BC8: 0BA1A114
	v_mul_f32_e32 v209, v20, v209                              // 000000006BCC: 0BA3A314
	v_mul_f32_e32 v210, v20, v210                              // 000000006BD0: 0BA5A514
	v_mul_f32_e32 v211, v20, v211                              // 000000006BD4: 0BA7A714
	v_mul_f32_e32 v212, v25, v212                              // 000000006BD8: 0BA9A919
	v_mul_f32_e32 v213, v25, v213                              // 000000006BDC: 0BABAB19
	v_mul_f32_e32 v214, v25, v214                              // 000000006BE0: 0BADAD19
	v_mul_f32_e32 v215, v25, v215                              // 000000006BE4: 0BAFAF19
	v_mul_f32_dpp v212, v12, v212 row_newbcast:12 row_mask:0xf bank_mask:0xf// 000000006BE8: 0BA9A8FA FF015C0C
	v_mul_f32_dpp v213, v12, v213 row_newbcast:13 row_mask:0xf bank_mask:0xf// 000000006BF0: 0BABAAFA FF015D0C
	v_mul_f32_dpp v214, v12, v214 row_newbcast:14 row_mask:0xf bank_mask:0xf// 000000006BF8: 0BADACFA FF015E0C
	v_mul_f32_dpp v215, v12, v215 row_newbcast:15 row_mask:0xf bank_mask:0xf// 000000006C00: 0BAFAEFA FF015F0C
	v_mul_f32_e32 v212, v21, v212                              // 000000006C08: 0BA9A915
	v_mul_f32_e32 v213, v21, v213                              // 000000006C0C: 0BABAB15
	v_mul_f32_e32 v214, v21, v214                              // 000000006C10: 0BADAD15
	v_mul_f32_e32 v215, v21, v215                              // 000000006C14: 0BAFAF15
	v_cmp_u_f32_e64 s[48:49], v184, v184                       // 000000006C18: D0480030 000371B8
	v_add3_u32 v45, v184, v48, 1                               // 000000006C20: D1FF002D 020661B8
	v_cndmask_b32_e64 v52, v45, v47, s[48:49]                  // 000000006C28: D1000034 00C25F2D
	v_cmp_u_f32_e64 s[48:49], v185, v185                       // 000000006C30: D0480030 000373B9
	v_add3_u32 v45, v185, v48, 1                               // 000000006C38: D1FF002D 020661B9
	v_cndmask_b32_e64 v53, v45, v47, s[48:49]                  // 000000006C40: D1000035 00C25F2D
	v_perm_b32 v184, v53, v52, s52                             // 000000006C48: D1ED00B8 00D26935
	v_cmp_u_f32_e64 s[48:49], v186, v186                       // 000000006C50: D0480030 000375BA
	v_add3_u32 v45, v186, v48, 1                               // 000000006C58: D1FF002D 020661BA
	v_cndmask_b32_e64 v52, v45, v47, s[48:49]                  // 000000006C60: D1000034 00C25F2D
	v_cmp_u_f32_e64 s[48:49], v187, v187                       // 000000006C68: D0480030 000377BB
	v_add3_u32 v45, v187, v48, 1                               // 000000006C70: D1FF002D 020661BB
	v_cndmask_b32_e64 v53, v45, v47, s[48:49]                  // 000000006C78: D1000035 00C25F2D
	v_perm_b32 v185, v53, v52, s52                             // 000000006C80: D1ED00B9 00D26935
	v_cmp_u_f32_e64 s[48:49], v188, v188                       // 000000006C88: D0480030 000379BC
	v_add3_u32 v45, v188, v48, 1                               // 000000006C90: D1FF002D 020661BC
	v_cndmask_b32_e64 v52, v45, v47, s[48:49]                  // 000000006C98: D1000034 00C25F2D
	v_cmp_u_f32_e64 s[48:49], v189, v189                       // 000000006CA0: D0480030 00037BBD
	v_add3_u32 v45, v189, v48, 1                               // 000000006CA8: D1FF002D 020661BD
	v_cndmask_b32_e64 v53, v45, v47, s[48:49]                  // 000000006CB0: D1000035 00C25F2D
	v_perm_b32 v186, v53, v52, s52                             // 000000006CB8: D1ED00BA 00D26935
	v_cmp_u_f32_e64 s[48:49], v190, v190                       // 000000006CC0: D0480030 00037DBE
	v_add3_u32 v45, v190, v48, 1                               // 000000006CC8: D1FF002D 020661BE
	v_cndmask_b32_e64 v52, v45, v47, s[48:49]                  // 000000006CD0: D1000034 00C25F2D
	v_cmp_u_f32_e64 s[48:49], v191, v191                       // 000000006CD8: D0480030 00037FBF
	v_add3_u32 v45, v191, v48, 1                               // 000000006CE0: D1FF002D 020661BF
	v_cndmask_b32_e64 v53, v45, v47, s[48:49]                  // 000000006CE8: D1000035 00C25F2D
	v_perm_b32 v187, v53, v52, s52                             // 000000006CF0: D1ED00BB 00D26935
	v_cmp_u_f32_e64 s[48:49], v192, v192                       // 000000006CF8: D0480030 000381C0
	v_add3_u32 v45, v192, v48, 1                               // 000000006D00: D1FF002D 020661C0
	v_cndmask_b32_e64 v52, v45, v47, s[48:49]                  // 000000006D08: D1000034 00C25F2D
	v_cmp_u_f32_e64 s[48:49], v193, v193                       // 000000006D10: D0480030 000383C1
	v_add3_u32 v45, v193, v48, 1                               // 000000006D18: D1FF002D 020661C1
	v_cndmask_b32_e64 v53, v45, v47, s[48:49]                  // 000000006D20: D1000035 00C25F2D
	v_perm_b32 v188, v53, v52, s52                             // 000000006D28: D1ED00BC 00D26935
	v_cmp_u_f32_e64 s[48:49], v194, v194                       // 000000006D30: D0480030 000385C2
	v_add3_u32 v45, v194, v48, 1                               // 000000006D38: D1FF002D 020661C2
	v_cndmask_b32_e64 v52, v45, v47, s[48:49]                  // 000000006D40: D1000034 00C25F2D
	v_cmp_u_f32_e64 s[48:49], v195, v195                       // 000000006D48: D0480030 000387C3
	v_add3_u32 v45, v195, v48, 1                               // 000000006D50: D1FF002D 020661C3
	v_cndmask_b32_e64 v53, v45, v47, s[48:49]                  // 000000006D58: D1000035 00C25F2D
	v_perm_b32 v189, v53, v52, s52                             // 000000006D60: D1ED00BD 00D26935
	v_cmp_u_f32_e64 s[48:49], v196, v196                       // 000000006D68: D0480030 000389C4
	v_add3_u32 v45, v196, v48, 1                               // 000000006D70: D1FF002D 020661C4
	v_cndmask_b32_e64 v52, v45, v47, s[48:49]                  // 000000006D78: D1000034 00C25F2D
	v_cmp_u_f32_e64 s[48:49], v197, v197                       // 000000006D80: D0480030 00038BC5
	v_add3_u32 v45, v197, v48, 1                               // 000000006D88: D1FF002D 020661C5
	v_cndmask_b32_e64 v53, v45, v47, s[48:49]                  // 000000006D90: D1000035 00C25F2D
	v_perm_b32 v190, v53, v52, s52                             // 000000006D98: D1ED00BE 00D26935
	v_cmp_u_f32_e64 s[48:49], v198, v198                       // 000000006DA0: D0480030 00038DC6
	v_add3_u32 v45, v198, v48, 1                               // 000000006DA8: D1FF002D 020661C6
	v_cndmask_b32_e64 v52, v45, v47, s[48:49]                  // 000000006DB0: D1000034 00C25F2D
	v_cmp_u_f32_e64 s[48:49], v199, v199                       // 000000006DB8: D0480030 00038FC7
	v_add3_u32 v45, v199, v48, 1                               // 000000006DC0: D1FF002D 020661C7
	v_cndmask_b32_e64 v53, v45, v47, s[48:49]                  // 000000006DC8: D1000035 00C25F2D
	v_perm_b32 v191, v53, v52, s52                             // 000000006DD0: D1ED00BF 00D26935
	v_cmp_u_f32_e64 s[48:49], v200, v200                       // 000000006DD8: D0480030 000391C8
	v_add3_u32 v45, v200, v48, 1                               // 000000006DE0: D1FF002D 020661C8
	v_cndmask_b32_e64 v52, v45, v47, s[48:49]                  // 000000006DE8: D1000034 00C25F2D
	v_cmp_u_f32_e64 s[48:49], v201, v201                       // 000000006DF0: D0480030 000393C9
	v_add3_u32 v45, v201, v48, 1                               // 000000006DF8: D1FF002D 020661C9
	v_cndmask_b32_e64 v53, v45, v47, s[48:49]                  // 000000006E00: D1000035 00C25F2D
	v_perm_b32 v192, v53, v52, s52                             // 000000006E08: D1ED00C0 00D26935
	v_cmp_u_f32_e64 s[48:49], v202, v202                       // 000000006E10: D0480030 000395CA
	v_add3_u32 v45, v202, v48, 1                               // 000000006E18: D1FF002D 020661CA
	v_cndmask_b32_e64 v52, v45, v47, s[48:49]                  // 000000006E20: D1000034 00C25F2D
	v_cmp_u_f32_e64 s[48:49], v203, v203                       // 000000006E28: D0480030 000397CB
	v_add3_u32 v45, v203, v48, 1                               // 000000006E30: D1FF002D 020661CB
	v_cndmask_b32_e64 v53, v45, v47, s[48:49]                  // 000000006E38: D1000035 00C25F2D
	v_perm_b32 v193, v53, v52, s52                             // 000000006E40: D1ED00C1 00D26935
	v_cmp_u_f32_e64 s[48:49], v204, v204                       // 000000006E48: D0480030 000399CC
	v_add3_u32 v45, v204, v48, 1                               // 000000006E50: D1FF002D 020661CC
	v_cndmask_b32_e64 v52, v45, v47, s[48:49]                  // 000000006E58: D1000034 00C25F2D
	v_cmp_u_f32_e64 s[48:49], v205, v205                       // 000000006E60: D0480030 00039BCD
	v_add3_u32 v45, v205, v48, 1                               // 000000006E68: D1FF002D 020661CD
	v_cndmask_b32_e64 v53, v45, v47, s[48:49]                  // 000000006E70: D1000035 00C25F2D
	v_perm_b32 v194, v53, v52, s52                             // 000000006E78: D1ED00C2 00D26935
	v_cmp_u_f32_e64 s[48:49], v206, v206                       // 000000006E80: D0480030 00039DCE
	v_add3_u32 v45, v206, v48, 1                               // 000000006E88: D1FF002D 020661CE
	v_cndmask_b32_e64 v52, v45, v47, s[48:49]                  // 000000006E90: D1000034 00C25F2D
	v_cmp_u_f32_e64 s[48:49], v207, v207                       // 000000006E98: D0480030 00039FCF
	v_add3_u32 v45, v207, v48, 1                               // 000000006EA0: D1FF002D 020661CF
	v_cndmask_b32_e64 v53, v45, v47, s[48:49]                  // 000000006EA8: D1000035 00C25F2D
	v_perm_b32 v195, v53, v52, s52                             // 000000006EB0: D1ED00C3 00D26935
	v_cmp_u_f32_e64 s[48:49], v208, v208                       // 000000006EB8: D0480030 0003A1D0
	v_add3_u32 v45, v208, v48, 1                               // 000000006EC0: D1FF002D 020661D0
	v_cndmask_b32_e64 v52, v45, v47, s[48:49]                  // 000000006EC8: D1000034 00C25F2D
	v_cmp_u_f32_e64 s[48:49], v209, v209                       // 000000006ED0: D0480030 0003A3D1
	v_add3_u32 v45, v209, v48, 1                               // 000000006ED8: D1FF002D 020661D1
	v_cndmask_b32_e64 v53, v45, v47, s[48:49]                  // 000000006EE0: D1000035 00C25F2D
	v_perm_b32 v196, v53, v52, s52                             // 000000006EE8: D1ED00C4 00D26935
	v_cmp_u_f32_e64 s[48:49], v210, v210                       // 000000006EF0: D0480030 0003A5D2
	v_add3_u32 v45, v210, v48, 1                               // 000000006EF8: D1FF002D 020661D2
	v_cndmask_b32_e64 v52, v45, v47, s[48:49]                  // 000000006F00: D1000034 00C25F2D
	v_cmp_u_f32_e64 s[48:49], v211, v211                       // 000000006F08: D0480030 0003A7D3
	v_add3_u32 v45, v211, v48, 1                               // 000000006F10: D1FF002D 020661D3
	v_cndmask_b32_e64 v53, v45, v47, s[48:49]                  // 000000006F18: D1000035 00C25F2D
	v_perm_b32 v197, v53, v52, s52                             // 000000006F20: D1ED00C5 00D26935
	v_cmp_u_f32_e64 s[48:49], v212, v212                       // 000000006F28: D0480030 0003A9D4
	v_add3_u32 v45, v212, v48, 1                               // 000000006F30: D1FF002D 020661D4
	v_cndmask_b32_e64 v52, v45, v47, s[48:49]                  // 000000006F38: D1000034 00C25F2D
	v_cmp_u_f32_e64 s[48:49], v213, v213                       // 000000006F40: D0480030 0003ABD5
	v_add3_u32 v45, v213, v48, 1                               // 000000006F48: D1FF002D 020661D5
	v_cndmask_b32_e64 v53, v45, v47, s[48:49]                  // 000000006F50: D1000035 00C25F2D
	v_perm_b32 v198, v53, v52, s52                             // 000000006F58: D1ED00C6 00D26935
	v_cmp_u_f32_e64 s[48:49], v214, v214                       // 000000006F60: D0480030 0003ADD6
	v_add3_u32 v45, v214, v48, 1                               // 000000006F68: D1FF002D 020661D6
	v_cndmask_b32_e64 v52, v45, v47, s[48:49]                  // 000000006F70: D1000034 00C25F2D
	v_cmp_u_f32_e64 s[48:49], v215, v215                       // 000000006F78: D0480030 0003AFD7
	v_add3_u32 v45, v215, v48, 1                               // 000000006F80: D1FF002D 020661D7
	v_cndmask_b32_e64 v53, v45, v47, s[48:49]                  // 000000006F88: D1000035 00C25F2D
	v_perm_b32 v199, v53, v52, s52                             // 000000006F90: D1ED00C7 00D26935
	s_cmp_ge_u32 s80, 0x200                                    // 000000006F98: BF09FF50 00000200
	s_cselect_b32 s59, 0x200, s59                              // 000000006FA0: 853B3BFF 00000200
	s_setvskip s20, 0                                          // 000000006FA8: BF108014
	global_atomic_pk_add_bf16 v80, v64, s[8:9]                 // 000000006FAC: DD488000 00084050
	s_setvskip 0, 0                                            // 000000006FB4: BF108080
	s_setvskip s20, 0                                          // 000000006FB8: BF108014
	global_atomic_pk_add_bf16 v80, v65, s[8:9] offset:256      // 000000006FBC: DD488100 00084150
	s_setvskip 0, 0                                            // 000000006FC4: BF108080
	s_setvskip s20, 1                                          // 000000006FC8: BF108114
	global_atomic_pk_add_bf16 v82, v66, s[8:9]                 // 000000006FCC: DD488000 00084252
	s_setvskip 0, 0                                            // 000000006FD4: BF108080
	s_setvskip s20, 1                                          // 000000006FD8: BF108114
	global_atomic_pk_add_bf16 v82, v67, s[8:9] offset:256      // 000000006FDC: DD488100 00084352
	s_setvskip 0, 0                                            // 000000006FE4: BF108080
	s_setvskip s20, 2                                          // 000000006FE8: BF108214
	global_atomic_pk_add_bf16 v84, v68, s[8:9]                 // 000000006FEC: DD488000 00084454
	s_setvskip 0, 0                                            // 000000006FF4: BF108080
	s_setvskip s20, 2                                          // 000000006FF8: BF108214
	global_atomic_pk_add_bf16 v84, v69, s[8:9] offset:256      // 000000006FFC: DD488100 00084554
	s_setvskip 0, 0                                            // 000000007004: BF108080
	s_setvskip s20, 3                                          // 000000007008: BF108314
	global_atomic_pk_add_bf16 v86, v70, s[8:9]                 // 00000000700C: DD488000 00084656
	s_setvskip 0, 0                                            // 000000007014: BF108080
	s_setvskip s20, 3                                          // 000000007018: BF108314
	global_atomic_pk_add_bf16 v86, v71, s[8:9] offset:256      // 00000000701C: DD488100 00084756
	s_setvskip 0, 0                                            // 000000007024: BF108080
	s_setvskip s20, 4                                          // 000000007028: BF108414
	global_atomic_pk_add_bf16 v88, v72, s[8:9]                 // 00000000702C: DD488000 00084858
	s_setvskip 0, 0                                            // 000000007034: BF108080
	s_setvskip s20, 4                                          // 000000007038: BF108414
	global_atomic_pk_add_bf16 v88, v73, s[8:9] offset:256      // 00000000703C: DD488100 00084958
	s_setvskip 0, 0                                            // 000000007044: BF108080
	s_setvskip s20, 5                                          // 000000007048: BF108514
	global_atomic_pk_add_bf16 v90, v74, s[8:9]                 // 00000000704C: DD488000 00084A5A
	s_setvskip 0, 0                                            // 000000007054: BF108080
	s_setvskip s20, 5                                          // 000000007058: BF108514
	global_atomic_pk_add_bf16 v90, v75, s[8:9] offset:256      // 00000000705C: DD488100 00084B5A
	s_setvskip 0, 0                                            // 000000007064: BF108080
	s_setvskip s20, 6                                          // 000000007068: BF108614
	global_atomic_pk_add_bf16 v92, v76, s[8:9]                 // 00000000706C: DD488000 00084C5C
	s_setvskip 0, 0                                            // 000000007074: BF108080
	s_setvskip s20, 6                                          // 000000007078: BF108614
	global_atomic_pk_add_bf16 v92, v77, s[8:9] offset:256      // 00000000707C: DD488100 00084D5C
	s_setvskip 0, 0                                            // 000000007084: BF108080
	s_setvskip s20, 7                                          // 000000007088: BF108714
	global_atomic_pk_add_bf16 v94, v78, s[8:9]                 // 00000000708C: DD488000 00084E5E
	s_setvskip 0, 0                                            // 000000007094: BF108080
	s_setvskip s20, 7                                          // 000000007098: BF108714
	global_atomic_pk_add_bf16 v94, v79, s[8:9] offset:256      // 00000000709C: DD488100 00084F5E
	s_setvskip 0, 0                                            // 0000000070A4: BF108080
	s_add_u32 s8, s59, s8                                      // 0000000070A8: 8008083B
	s_addc_u32 s9, 0, s9                                       // 0000000070AC: 82090980
	s_addk_i32 s80, 0x100                                      // 0000000070B0: B7500100
	s_cmp_lt_i32 s80, s81                                      // 0000000070B4: BF045150
	s_cbranch_scc0 label_13C1                                  // 0000000070B8: BF840312
	s_waitcnt vmcnt(25) lgkmcnt(0)                             // 0000000070BC: BF8C4079
	s_barrier                                                  // 0000000070C0: BF8A0000
	v_mfma_f32_16x16x32_fp8_fp8 v[216:219], a[112:113], v[128:129], 0// 0000000070C4: D3F300D8 0A030170
	ds_read_b32 v64, v4 offset:36096                           // 0000000070CC: D86C8D00 40000004
	ds_read_b32 v65, v4 offset:40448                           // 0000000070D4: D86C9E00 41000004
	v_mfma_f32_16x16x32_fp8_fp8 v[216:219], a[114:115], v[130:131], v[216:219]// 0000000070DC: D3F300D8 0F630572
	buffer_load_dwordx4 a[0:3], v41, s[12:15], 0 offen         // 0000000070E4: E05C1000 80830029
	v_mfma_f32_16x16x32_fp8_fp8 v[220:223], a[112:113], v[156:157], 0// 0000000070EC: D3F300DC 0A033970
	ds_read_b32 v66, v4 offset:36128                           // 0000000070F4: D86C8D20 42000004
	ds_read_b32 v67, v4 offset:40480                           // 0000000070FC: D86C9E20 43000004
	v_mfma_f32_16x16x32_fp8_fp8 v[220:223], a[114:115], v[158:159], v[220:223]// 000000007104: D3F300DC 0F733D72
	v_mfma_f32_16x16x32_fp8_fp8 v[224:227], a[116:117], v[128:129], 0// 00000000710C: D3F300E0 0A030174
	ds_read_b32 v68, v4 offset:36160                           // 000000007114: D86C8D40 44000004
	ds_read_b32 v69, v4 offset:40512                           // 00000000711C: D86C9E40 45000004
	v_mfma_f32_16x16x32_fp8_fp8 v[224:227], a[118:119], v[130:131], v[224:227]// 000000007124: D3F300E0 0F830576
	buffer_load_dwordx4 a[4:7], v42, s[12:15], 0 offen         // 00000000712C: E05C1000 8083042A
	v_mfma_f32_16x16x32_fp8_fp8 v[228:231], a[116:117], v[156:157], 0// 000000007134: D3F300E4 0A033974
	ds_read_b32 v70, v4 offset:36192                           // 00000000713C: D86C8D60 46000004
	ds_read_b32 v71, v4 offset:40544                           // 000000007144: D86C9E60 47000004
	v_mfma_f32_16x16x32_fp8_fp8 v[228:231], a[118:119], v[158:159], v[228:231]// 00000000714C: D3F300E4 0F933D76
	v_mfma_f32_16x16x32_fp8_fp8 v[232:235], a[120:121], v[128:129], 0// 000000007154: D3F300E8 0A030178
	ds_read_b32 v72, v4 offset:44800                           // 00000000715C: D86CAF00 48000004
	ds_read_b32 v73, v4 offset:49152                           // 000000007164: D86CC000 49000004
	v_mfma_f32_16x16x32_fp8_fp8 v[232:235], a[122:123], v[130:131], v[232:235]// 00000000716C: D3F300E8 0FA3057A
	buffer_load_dwordx4 a[8:11], v43, s[12:15], 0 offen        // 000000007174: E05C1000 8083082B
	v_mfma_f32_16x16x32_fp8_fp8 v[236:239], a[120:121], v[156:157], 0// 00000000717C: D3F300EC 0A033978
	ds_read_b32 v74, v4 offset:44832                           // 000000007184: D86CAF20 4A000004
	ds_read_b32 v75, v4 offset:49184                           // 00000000718C: D86CC020 4B000004
	v_mfma_f32_16x16x32_fp8_fp8 v[236:239], a[122:123], v[158:159], v[236:239]// 000000007194: D3F300EC 0FB33D7A
	v_mfma_f32_16x16x32_fp8_fp8 v[240:243], a[124:125], v[128:129], 0// 00000000719C: D3F300F0 0A03017C
	ds_read_b32 v76, v4 offset:44864                           // 0000000071A4: D86CAF40 4C000004
	ds_read_b32 v77, v4 offset:49216                           // 0000000071AC: D86CC040 4D000004
	v_mfma_f32_16x16x32_fp8_fp8 v[240:243], a[126:127], v[130:131], v[240:243]// 0000000071B4: D3F300F0 0FC3057E
	buffer_load_dwordx4 a[12:15], v44, s[12:15], 0 offen       // 0000000071BC: E05C1000 80830C2C
	s_add_u32 s12, s78, s12                                    // 0000000071C4: 800C0C4E
	s_addc_u32 s13, 0, s13                                     // 0000000071C8: 820D0D80
	v_mfma_f32_16x16x32_fp8_fp8 v[244:247], a[124:125], v[156:157], 0// 0000000071CC: D3F300F4 0A03397C
	ds_read_b32 v78, v4 offset:44896                           // 0000000071D4: D86CAF60 4E000004
	ds_read_b32 v79, v4 offset:49248                           // 0000000071DC: D86CC060 4F000004
	v_mfma_f32_16x16x32_fp8_fp8 v[244:247], a[126:127], v[158:159], v[244:247]// 0000000071E4: D3F300F4 0FD33D7E
	s_waitcnt vmcnt(25)                                        // 0000000071EC: BF8C4F79
	v_mfma_f32_16x16x32_fp8_fp8 v[216:219], a[128:129], v[132:133], v[216:219]// 0000000071F0: D3F300D8 0F630980
	v_mfma_f32_16x16x32_fp8_fp8 v[216:219], a[130:131], v[134:135], v[216:219]// 0000000071F8: D3F300D8 0F630D82
	buffer_load_dwordx4 a[16:19], v41, s[12:15], 0 offen       // 000000007200: E05C1000 80831029
	v_mfma_f32_16x16x32_fp8_fp8 v[220:223], a[128:129], v[160:161], v[220:223]// 000000007208: D3F300DC 0F734180
	v_mfma_f32_16x16x32_fp8_fp8 v[220:223], a[130:131], v[162:163], v[220:223]// 000000007210: D3F300DC 0F734582
	v_mfma_f32_16x16x32_fp8_fp8 v[224:227], a[132:133], v[132:133], v[224:227]// 000000007218: D3F300E0 0F830984
	v_mfma_f32_16x16x32_fp8_fp8 v[224:227], a[134:135], v[134:135], v[224:227]// 000000007220: D3F300E0 0F830D86
	buffer_load_dwordx4 a[20:23], v42, s[12:15], 0 offen       // 000000007228: E05C1000 8083142A
	v_mfma_f32_16x16x32_fp8_fp8 v[228:231], a[132:133], v[160:161], v[228:231]// 000000007230: D3F300E4 0F934184
	v_mfma_f32_16x16x32_fp8_fp8 v[228:231], a[134:135], v[162:163], v[228:231]// 000000007238: D3F300E4 0F934586
	v_mfma_f32_16x16x32_fp8_fp8 v[232:235], a[136:137], v[132:133], v[232:235]// 000000007240: D3F300E8 0FA30988
	v_mfma_f32_16x16x32_fp8_fp8 v[232:235], a[138:139], v[134:135], v[232:235]// 000000007248: D3F300E8 0FA30D8A
	buffer_load_dwordx4 a[24:27], v43, s[12:15], 0 offen       // 000000007250: E05C1000 8083182B
	v_mfma_f32_16x16x32_fp8_fp8 v[236:239], a[136:137], v[160:161], v[236:239]// 000000007258: D3F300EC 0FB34188
	v_mfma_f32_16x16x32_fp8_fp8 v[236:239], a[138:139], v[162:163], v[236:239]// 000000007260: D3F300EC 0FB3458A
	v_mfma_f32_16x16x32_fp8_fp8 v[240:243], a[140:141], v[132:133], v[240:243]// 000000007268: D3F300F0 0FC3098C
	v_mfma_f32_16x16x32_fp8_fp8 v[240:243], a[142:143], v[134:135], v[240:243]// 000000007270: D3F300F0 0FC30D8E
	buffer_load_dwordx4 a[28:31], v44, s[12:15], 0 offen       // 000000007278: E05C1000 80831C2C
	s_add_u32 s12, s78, s12                                    // 000000007280: 800C0C4E
	s_addc_u32 s13, 0, s13                                     // 000000007284: 820D0D80
	v_mfma_f32_16x16x32_fp8_fp8 v[244:247], a[140:141], v[160:161], v[244:247]// 000000007288: D3F300F4 0FD3418C
	v_mfma_f32_16x16x32_fp8_fp8 v[244:247], a[142:143], v[162:163], v[244:247]// 000000007290: D3F300F4 0FD3458E
	s_waitcnt vmcnt(25)                                        // 000000007298: BF8C4F79
	v_mfma_f32_16x16x32_fp8_fp8 v[216:219], a[144:145], v[136:137], v[216:219]// 00000000729C: D3F300D8 0F631190
	ds_write_b64 v3, v[184:185] offset:18688                   // 0000000072A4: D89A4900 0000B803
	v_mfma_f32_16x16x32_fp8_fp8 v[216:219], a[146:147], v[138:139], v[216:219]// 0000000072AC: D3F300D8 0F631592
	buffer_load_dwordx4 a[32:35], v41, s[12:15], 0 offen       // 0000000072B4: E05C1000 80832029
	v_mfma_f32_16x16x32_fp8_fp8 v[220:223], a[144:145], v[164:165], v[220:223]// 0000000072BC: D3F300DC 0F734990
	ds_write_b64 v3, v[186:187] offset:27392                   // 0000000072C4: D89A6B00 0000BA03
	v_mfma_f32_16x16x32_fp8_fp8 v[220:223], a[146:147], v[166:167], v[220:223]// 0000000072CC: D3F300DC 0F734D92
	v_mfma_f32_16x16x32_fp8_fp8 v[224:227], a[148:149], v[136:137], v[224:227]// 0000000072D4: D3F300E0 0F831194
	ds_write_b64 v3, v[188:189] offset:20864                   // 0000000072DC: D89A5180 0000BC03
	v_mfma_f32_16x16x32_fp8_fp8 v[224:227], a[150:151], v[138:139], v[224:227]// 0000000072E4: D3F300E0 0F831596
	buffer_load_dwordx4 a[36:39], v42, s[12:15], 0 offen       // 0000000072EC: E05C1000 8083242A
	v_mfma_f32_16x16x32_fp8_fp8 v[228:231], a[148:149], v[164:165], v[228:231]// 0000000072F4: D3F300E4 0F934994
	ds_write_b64 v3, v[190:191] offset:29568                   // 0000000072FC: D89A7380 0000BE03
	v_mfma_f32_16x16x32_fp8_fp8 v[228:231], a[150:151], v[166:167], v[228:231]// 000000007304: D3F300E4 0F934D96
	v_mfma_f32_16x16x32_fp8_fp8 v[232:235], a[152:153], v[136:137], v[232:235]// 00000000730C: D3F300E8 0FA31198
	ds_write_b64 v3, v[192:193] offset:23040                   // 000000007314: D89A5A00 0000C003
	v_mfma_f32_16x16x32_fp8_fp8 v[232:235], a[154:155], v[138:139], v[232:235]// 00000000731C: D3F300E8 0FA3159A
	buffer_load_dwordx4 a[40:43], v43, s[12:15], 0 offen       // 000000007324: E05C1000 8083282B
	v_mfma_f32_16x16x32_fp8_fp8 v[236:239], a[152:153], v[164:165], v[236:239]// 00000000732C: D3F300EC 0FB34998
	ds_write_b64 v3, v[194:195] offset:31744                   // 000000007334: D89A7C00 0000C203
	v_mfma_f32_16x16x32_fp8_fp8 v[236:239], a[154:155], v[166:167], v[236:239]// 00000000733C: D3F300EC 0FB34D9A
	v_mfma_f32_16x16x32_fp8_fp8 v[240:243], a[156:157], v[136:137], v[240:243]// 000000007344: D3F300F0 0FC3119C
	ds_write_b64 v3, v[196:197] offset:25216                   // 00000000734C: D89A6280 0000C403
	v_mfma_f32_16x16x32_fp8_fp8 v[240:243], a[158:159], v[138:139], v[240:243]// 000000007354: D3F300F0 0FC3159E
	buffer_load_dwordx4 a[44:47], v44, s[12:15], 0 offen       // 00000000735C: E05C1000 80832C2C
	s_add_u32 s12, s78, s12                                    // 000000007364: 800C0C4E
	s_addc_u32 s13, 0, s13                                     // 000000007368: 820D0D80
	v_mfma_f32_16x16x32_fp8_fp8 v[244:247], a[156:157], v[164:165], v[244:247]// 00000000736C: D3F300F4 0FD3499C
	ds_write_b64 v3, v[198:199] offset:33920                   // 000000007374: D89A8480 0000C603
	v_mfma_f32_16x16x32_fp8_fp8 v[244:247], a[158:159], v[166:167], v[244:247]// 00000000737C: D3F300F4 0FD34D9E
	s_waitcnt vmcnt(25)                                        // 000000007384: BF8C4F79
	v_mfma_f32_16x16x32_fp8_fp8 v[216:219], a[160:161], v[140:141], v[216:219]// 000000007388: D3F300D8 0F6319A0
	v_mfma_f32_16x16x32_fp8_fp8 v[216:219], a[162:163], v[142:143], v[216:219]// 000000007390: D3F300D8 0F631DA2
	buffer_load_dwordx4 a[48:51], v41, s[12:15], 0 offen       // 000000007398: E05C1000 80833029
	v_mfma_f32_16x16x32_fp8_fp8 v[220:223], a[160:161], v[168:169], v[220:223]// 0000000073A0: D3F300DC 0F7351A0
	v_mfma_f32_16x16x32_fp8_fp8 v[220:223], a[162:163], v[170:171], v[220:223]// 0000000073A8: D3F300DC 0F7355A2
	v_mfma_f32_16x16x32_fp8_fp8 v[224:227], a[164:165], v[140:141], v[224:227]// 0000000073B0: D3F300E0 0F8319A4
	v_mfma_f32_16x16x32_fp8_fp8 v[224:227], a[166:167], v[142:143], v[224:227]// 0000000073B8: D3F300E0 0F831DA6
	buffer_load_dwordx4 a[52:55], v42, s[12:15], 0 offen       // 0000000073C0: E05C1000 8083342A
	v_mfma_f32_16x16x32_fp8_fp8 v[228:231], a[164:165], v[168:169], v[228:231]// 0000000073C8: D3F300E4 0F9351A4
	v_mfma_f32_16x16x32_fp8_fp8 v[228:231], a[166:167], v[170:171], v[228:231]// 0000000073D0: D3F300E4 0F9355A6
	v_mfma_f32_16x16x32_fp8_fp8 v[232:235], a[168:169], v[140:141], v[232:235]// 0000000073D8: D3F300E8 0FA319A8
	v_mfma_f32_16x16x32_fp8_fp8 v[232:235], a[170:171], v[142:143], v[232:235]// 0000000073E0: D3F300E8 0FA31DAA
	buffer_load_dwordx4 a[56:59], v43, s[12:15], 0 offen       // 0000000073E8: E05C1000 8083382B
	v_mfma_f32_16x16x32_fp8_fp8 v[236:239], a[168:169], v[168:169], v[236:239]// 0000000073F0: D3F300EC 0FB351A8
	v_mfma_f32_16x16x32_fp8_fp8 v[236:239], a[170:171], v[170:171], v[236:239]// 0000000073F8: D3F300EC 0FB355AA
	v_mfma_f32_16x16x32_fp8_fp8 v[240:243], a[172:173], v[140:141], v[240:243]// 000000007400: D3F300F0 0FC319AC
	v_mfma_f32_16x16x32_fp8_fp8 v[240:243], a[174:175], v[142:143], v[240:243]// 000000007408: D3F300F0 0FC31DAE
	buffer_load_dwordx4 a[60:63], v44, s[12:15], 0 offen       // 000000007410: E05C1000 80833C2C
	s_add_u32 s12, s78, s12                                    // 000000007418: 800C0C4E
	s_addc_u32 s13, 0, s13                                     // 00000000741C: 820D0D80
	v_mfma_f32_16x16x32_fp8_fp8 v[244:247], a[172:173], v[168:169], v[244:247]// 000000007420: D3F300F4 0FD351AC
	v_mfma_f32_16x16x32_fp8_fp8 v[244:247], a[174:175], v[170:171], v[244:247]// 000000007428: D3F300F4 0FD355AE
	s_waitcnt vmcnt(25)                                        // 000000007430: BF8C4F79
	v_mfma_f32_16x16x32_fp8_fp8 v[216:219], a[176:177], v[144:145], v[216:219]// 000000007434: D3F300D8 0F6321B0
	v_mfma_f32_16x16x32_fp8_fp8 v[216:219], a[178:179], v[146:147], v[216:219]// 00000000743C: D3F300D8 0F6325B2
	buffer_load_dwordx4 a[64:67], v41, s[12:15], 0 offen       // 000000007444: E05C1000 80834029
	v_mfma_f32_16x16x32_fp8_fp8 v[220:223], a[176:177], v[172:173], v[220:223]// 00000000744C: D3F300DC 0F7359B0
	v_mfma_f32_16x16x32_fp8_fp8 v[220:223], a[178:179], v[174:175], v[220:223]// 000000007454: D3F300DC 0F735DB2
	v_mfma_f32_16x16x32_fp8_fp8 v[224:227], a[180:181], v[144:145], v[224:227]// 00000000745C: D3F300E0 0F8321B4
	v_mfma_f32_16x16x32_fp8_fp8 v[224:227], a[182:183], v[146:147], v[224:227]// 000000007464: D3F300E0 0F8325B6
	buffer_load_dwordx4 a[68:71], v42, s[12:15], 0 offen       // 00000000746C: E05C1000 8083442A
	v_mfma_f32_16x16x32_fp8_fp8 v[228:231], a[180:181], v[172:173], v[228:231]// 000000007474: D3F300E4 0F9359B4
	v_mfma_f32_16x16x32_fp8_fp8 v[228:231], a[182:183], v[174:175], v[228:231]// 00000000747C: D3F300E4 0F935DB6
	v_mfma_f32_16x16x32_fp8_fp8 v[232:235], a[184:185], v[144:145], v[232:235]// 000000007484: D3F300E8 0FA321B8
	v_mfma_f32_16x16x32_fp8_fp8 v[232:235], a[186:187], v[146:147], v[232:235]// 00000000748C: D3F300E8 0FA325BA
	buffer_load_dwordx4 a[72:75], v43, s[12:15], 0 offen       // 000000007494: E05C1000 8083482B
	v_mfma_f32_16x16x32_fp8_fp8 v[236:239], a[184:185], v[172:173], v[236:239]// 00000000749C: D3F300EC 0FB359B8
	v_mfma_f32_16x16x32_fp8_fp8 v[236:239], a[186:187], v[174:175], v[236:239]// 0000000074A4: D3F300EC 0FB35DBA
	v_mfma_f32_16x16x32_fp8_fp8 v[240:243], a[188:189], v[144:145], v[240:243]// 0000000074AC: D3F300F0 0FC321BC
	v_mfma_f32_16x16x32_fp8_fp8 v[240:243], a[190:191], v[146:147], v[240:243]// 0000000074B4: D3F300F0 0FC325BE
	buffer_load_dwordx4 a[76:79], v44, s[12:15], 0 offen       // 0000000074BC: E05C1000 80834C2C
	s_add_u32 s12, s78, s12                                    // 0000000074C4: 800C0C4E
	s_addc_u32 s13, 0, s13                                     // 0000000074C8: 820D0D80
	v_mfma_f32_16x16x32_fp8_fp8 v[244:247], a[188:189], v[172:173], v[244:247]// 0000000074CC: D3F300F4 0FD359BC
	v_mfma_f32_16x16x32_fp8_fp8 v[244:247], a[190:191], v[174:175], v[244:247]// 0000000074D4: D3F300F4 0FD35DBE
	s_waitcnt vmcnt(25)                                        // 0000000074DC: BF8C4F79
	v_mfma_f32_16x16x32_fp8_fp8 v[216:219], a[192:193], v[148:149], v[216:219]// 0000000074E0: D3F300D8 0F6329C0
	v_mfma_f32_16x16x32_fp8_fp8 v[216:219], a[194:195], v[150:151], v[216:219]// 0000000074E8: D3F300D8 0F632DC2
	buffer_load_dwordx4 a[80:83], v41, s[12:15], 0 offen       // 0000000074F0: E05C1000 80835029
	v_mfma_f32_16x16x32_fp8_fp8 v[220:223], a[192:193], v[176:177], v[220:223]// 0000000074F8: D3F300DC 0F7361C0
	v_mfma_f32_16x16x32_fp8_fp8 v[220:223], a[194:195], v[178:179], v[220:223]// 000000007500: D3F300DC 0F7365C2
	v_mfma_f32_16x16x32_fp8_fp8 v[224:227], a[196:197], v[148:149], v[224:227]// 000000007508: D3F300E0 0F8329C4
	v_mfma_f32_16x16x32_fp8_fp8 v[224:227], a[198:199], v[150:151], v[224:227]// 000000007510: D3F300E0 0F832DC6
	buffer_load_dwordx4 a[84:87], v42, s[12:15], 0 offen       // 000000007518: E05C1000 8083542A
	v_mfma_f32_16x16x32_fp8_fp8 v[228:231], a[196:197], v[176:177], v[228:231]// 000000007520: D3F300E4 0F9361C4
	v_mfma_f32_16x16x32_fp8_fp8 v[228:231], a[198:199], v[178:179], v[228:231]// 000000007528: D3F300E4 0F9365C6
	v_mfma_f32_16x16x32_fp8_fp8 v[232:235], a[200:201], v[148:149], v[232:235]// 000000007530: D3F300E8 0FA329C8
	v_mfma_f32_16x16x32_fp8_fp8 v[232:235], a[202:203], v[150:151], v[232:235]// 000000007538: D3F300E8 0FA32DCA
	buffer_load_dwordx4 a[88:91], v43, s[12:15], 0 offen       // 000000007540: E05C1000 8083582B
	v_mfma_f32_16x16x32_fp8_fp8 v[236:239], a[200:201], v[176:177], v[236:239]// 000000007548: D3F300EC 0FB361C8
	v_mfma_f32_16x16x32_fp8_fp8 v[236:239], a[202:203], v[178:179], v[236:239]// 000000007550: D3F300EC 0FB365CA
	v_mfma_f32_16x16x32_fp8_fp8 v[240:243], a[204:205], v[148:149], v[240:243]// 000000007558: D3F300F0 0FC329CC
	v_mfma_f32_16x16x32_fp8_fp8 v[240:243], a[206:207], v[150:151], v[240:243]// 000000007560: D3F300F0 0FC32DCE
	buffer_load_dwordx4 a[92:95], v44, s[12:15], 0 offen       // 000000007568: E05C1000 80835C2C
	s_add_u32 s12, s78, s12                                    // 000000007570: 800C0C4E
	s_addc_u32 s13, 0, s13                                     // 000000007574: 820D0D80
	v_mfma_f32_16x16x32_fp8_fp8 v[244:247], a[204:205], v[176:177], v[244:247]// 000000007578: D3F300F4 0FD361CC
	v_mfma_f32_16x16x32_fp8_fp8 v[244:247], a[206:207], v[178:179], v[244:247]// 000000007580: D3F300F4 0FD365CE
	s_waitcnt vmcnt(24)                                        // 000000007588: BF8C4F78
	v_mfma_f32_16x16x32_fp8_fp8 v[216:219], a[208:209], v[152:153], v[216:219]// 00000000758C: D3F300D8 0F6331D0
	v_mfma_f32_16x16x32_fp8_fp8 v[216:219], a[210:211], v[154:155], v[216:219]// 000000007594: D3F300D8 0F6335D2
	buffer_load_dwordx4 a[96:99], v41, s[12:15], 0 offen       // 00000000759C: E05C1000 80836029
	v_mfma_f32_16x16x32_fp8_fp8 v[220:223], a[208:209], v[180:181], v[220:223]// 0000000075A4: D3F300DC 0F7369D0
	v_mfma_f32_16x16x32_fp8_fp8 v[220:223], a[210:211], v[182:183], v[220:223]// 0000000075AC: D3F300DC 0F736DD2
	buffer_load_dword v12, v5, s[16:19], 0 offen               // 0000000075B4: E0501000 80040C05
	v_mfma_f32_16x16x32_fp8_fp8 v[224:227], a[212:213], v[152:153], v[224:227]// 0000000075BC: D3F300E0 0F8331D4
	v_mfma_f32_16x16x32_fp8_fp8 v[224:227], a[214:215], v[154:155], v[224:227]// 0000000075C4: D3F300E0 0F8335D6
	buffer_load_dwordx4 a[100:103], v42, s[12:15], 0 offen     // 0000000075CC: E05C1000 8083642A
	v_mfma_f32_16x16x32_fp8_fp8 v[228:231], a[212:213], v[180:181], v[228:231]// 0000000075D4: D3F300E4 0F9369D4
	v_mfma_f32_16x16x32_fp8_fp8 v[228:231], a[214:215], v[182:183], v[228:231]// 0000000075DC: D3F300E4 0F936DD6
	v_mfma_f32_16x16x32_fp8_fp8 v[232:235], a[216:217], v[152:153], v[232:235]// 0000000075E4: D3F300E8 0FA331D8
	v_mfma_f32_16x16x32_fp8_fp8 v[232:235], a[218:219], v[154:155], v[232:235]// 0000000075EC: D3F300E8 0FA335DA
	buffer_load_dwordx4 a[104:107], v43, s[12:15], 0 offen     // 0000000075F4: E05C1000 8083682B
	v_mfma_f32_16x16x32_fp8_fp8 v[236:239], a[216:217], v[180:181], v[236:239]// 0000000075FC: D3F300EC 0FB369D8
	v_mfma_f32_16x16x32_fp8_fp8 v[236:239], a[218:219], v[182:183], v[236:239]// 000000007604: D3F300EC 0FB36DDA
	v_mfma_f32_16x16x32_fp8_fp8 v[240:243], a[220:221], v[152:153], v[240:243]// 00000000760C: D3F300F0 0FC331DC
	v_mfma_f32_16x16x32_fp8_fp8 v[240:243], a[222:223], v[154:155], v[240:243]// 000000007614: D3F300F0 0FC335DE
	buffer_load_dwordx4 a[108:111], v44, s[12:15], 0 offen     // 00000000761C: E05C1000 80836C2C
	v_mfma_f32_16x16x32_fp8_fp8 v[244:247], a[220:221], v[180:181], v[244:247]// 000000007624: D3F300F4 0FD369DC
	v_mfma_f32_16x16x32_fp8_fp8 v[244:247], a[222:223], v[182:183], v[244:247]// 00000000762C: D3F300F4 0FD36DDE
	s_add_u32 s60, 0x200, s80                                  // 000000007634: 803C50FF 00000200
	s_cmp_lt_u32 s60, s81                                      // 00000000763C: BF0A513C
	s_cselect_b32 s56, s56, 0                                  // 000000007640: 85388038
	s_cselect_b32 s78, s78, 0                                  // 000000007644: 854E804E
	s_cselect_b32 s79, s79, 0                                  // 000000007648: 854F804F
	s_add_u32 s12, s56, s12                                    // 00000000764C: 800C0C38
	s_addc_u32 s13, 0, s13                                     // 000000007650: 820D0D80
	s_add_u32 s16, s79, s16                                    // 000000007654: 8010104F
	s_addc_u32 s17, 0, s17                                     // 000000007658: 82111180
	v_mul_f32_e32 v216, v24, v216                              // 00000000765C: 0BB1B118
	v_mul_f32_e32 v217, v24, v217                              // 000000007660: 0BB3B318
	v_mul_f32_e32 v218, v24, v218                              // 000000007664: 0BB5B518
	v_mul_f32_e32 v219, v24, v219                              // 000000007668: 0BB7B718
	v_mul_f32_dpp v216, v13, v216 row_newbcast:0 row_mask:0xf bank_mask:0xf// 00000000766C: 0BB1B0FA FF01500D
	v_mul_f32_dpp v217, v13, v217 row_newbcast:1 row_mask:0xf bank_mask:0xf// 000000007674: 0BB3B2FA FF01510D
	v_mul_f32_dpp v218, v13, v218 row_newbcast:2 row_mask:0xf bank_mask:0xf// 00000000767C: 0BB5B4FA FF01520D
	v_mul_f32_dpp v219, v13, v219 row_newbcast:3 row_mask:0xf bank_mask:0xf// 000000007684: 0BB7B6FA FF01530D
	v_mul_f32_e32 v216, v20, v216                              // 00000000768C: 0BB1B114
	v_mul_f32_e32 v217, v20, v217                              // 000000007690: 0BB3B314
	v_mul_f32_e32 v218, v20, v218                              // 000000007694: 0BB5B514
	v_mul_f32_e32 v219, v20, v219                              // 000000007698: 0BB7B714
	v_mul_f32_e32 v220, v25, v220                              // 00000000769C: 0BB9B919
	v_mul_f32_e32 v221, v25, v221                              // 0000000076A0: 0BBBBB19
	v_mul_f32_e32 v222, v25, v222                              // 0000000076A4: 0BBDBD19
	v_mul_f32_e32 v223, v25, v223                              // 0000000076A8: 0BBFBF19
	v_mul_f32_dpp v220, v13, v220 row_newbcast:0 row_mask:0xf bank_mask:0xf// 0000000076AC: 0BB9B8FA FF01500D
	v_mul_f32_dpp v221, v13, v221 row_newbcast:1 row_mask:0xf bank_mask:0xf// 0000000076B4: 0BBBBAFA FF01510D
	v_mul_f32_dpp v222, v13, v222 row_newbcast:2 row_mask:0xf bank_mask:0xf// 0000000076BC: 0BBDBCFA FF01520D
	v_mul_f32_dpp v223, v13, v223 row_newbcast:3 row_mask:0xf bank_mask:0xf// 0000000076C4: 0BBFBEFA FF01530D
	v_mul_f32_e32 v220, v21, v220                              // 0000000076CC: 0BB9B915
	v_mul_f32_e32 v221, v21, v221                              // 0000000076D0: 0BBBBB15
	v_mul_f32_e32 v222, v21, v222                              // 0000000076D4: 0BBDBD15
	v_mul_f32_e32 v223, v21, v223                              // 0000000076D8: 0BBFBF15
	v_mul_f32_e32 v224, v24, v224                              // 0000000076DC: 0BC1C118
	v_mul_f32_e32 v225, v24, v225                              // 0000000076E0: 0BC3C318
	v_mul_f32_e32 v226, v24, v226                              // 0000000076E4: 0BC5C518
	v_mul_f32_e32 v227, v24, v227                              // 0000000076E8: 0BC7C718
	v_mul_f32_dpp v224, v13, v224 row_newbcast:4 row_mask:0xf bank_mask:0xf// 0000000076EC: 0BC1C0FA FF01540D
	v_mul_f32_dpp v225, v13, v225 row_newbcast:5 row_mask:0xf bank_mask:0xf// 0000000076F4: 0BC3C2FA FF01550D
	v_mul_f32_dpp v226, v13, v226 row_newbcast:6 row_mask:0xf bank_mask:0xf// 0000000076FC: 0BC5C4FA FF01560D
	v_mul_f32_dpp v227, v13, v227 row_newbcast:7 row_mask:0xf bank_mask:0xf// 000000007704: 0BC7C6FA FF01570D
	v_mul_f32_e32 v224, v20, v224                              // 00000000770C: 0BC1C114
	v_mul_f32_e32 v225, v20, v225                              // 000000007710: 0BC3C314
	v_mul_f32_e32 v226, v20, v226                              // 000000007714: 0BC5C514
	v_mul_f32_e32 v227, v20, v227                              // 000000007718: 0BC7C714
	v_mul_f32_e32 v228, v25, v228                              // 00000000771C: 0BC9C919
	v_mul_f32_e32 v229, v25, v229                              // 000000007720: 0BCBCB19
	v_mul_f32_e32 v230, v25, v230                              // 000000007724: 0BCDCD19
	v_mul_f32_e32 v231, v25, v231                              // 000000007728: 0BCFCF19
	v_mul_f32_dpp v228, v13, v228 row_newbcast:4 row_mask:0xf bank_mask:0xf// 00000000772C: 0BC9C8FA FF01540D
	v_mul_f32_dpp v229, v13, v229 row_newbcast:5 row_mask:0xf bank_mask:0xf// 000000007734: 0BCBCAFA FF01550D
	v_mul_f32_dpp v230, v13, v230 row_newbcast:6 row_mask:0xf bank_mask:0xf// 00000000773C: 0BCDCCFA FF01560D
	v_mul_f32_dpp v231, v13, v231 row_newbcast:7 row_mask:0xf bank_mask:0xf// 000000007744: 0BCFCEFA FF01570D
	v_mul_f32_e32 v228, v21, v228                              // 00000000774C: 0BC9C915
	v_mul_f32_e32 v229, v21, v229                              // 000000007750: 0BCBCB15
	v_mul_f32_e32 v230, v21, v230                              // 000000007754: 0BCDCD15
	v_mul_f32_e32 v231, v21, v231                              // 000000007758: 0BCFCF15
	v_mul_f32_e32 v232, v24, v232                              // 00000000775C: 0BD1D118
	v_mul_f32_e32 v233, v24, v233                              // 000000007760: 0BD3D318
	v_mul_f32_e32 v234, v24, v234                              // 000000007764: 0BD5D518
	v_mul_f32_e32 v235, v24, v235                              // 000000007768: 0BD7D718
	v_mul_f32_dpp v232, v13, v232 row_newbcast:8 row_mask:0xf bank_mask:0xf// 00000000776C: 0BD1D0FA FF01580D
	v_mul_f32_dpp v233, v13, v233 row_newbcast:9 row_mask:0xf bank_mask:0xf// 000000007774: 0BD3D2FA FF01590D
	v_mul_f32_dpp v234, v13, v234 row_newbcast:10 row_mask:0xf bank_mask:0xf// 00000000777C: 0BD5D4FA FF015A0D
	v_mul_f32_dpp v235, v13, v235 row_newbcast:11 row_mask:0xf bank_mask:0xf// 000000007784: 0BD7D6FA FF015B0D
	v_mul_f32_e32 v232, v20, v232                              // 00000000778C: 0BD1D114
	v_mul_f32_e32 v233, v20, v233                              // 000000007790: 0BD3D314
	v_mul_f32_e32 v234, v20, v234                              // 000000007794: 0BD5D514
	v_mul_f32_e32 v235, v20, v235                              // 000000007798: 0BD7D714
	v_mul_f32_e32 v236, v25, v236                              // 00000000779C: 0BD9D919
	v_mul_f32_e32 v237, v25, v237                              // 0000000077A0: 0BDBDB19
	v_mul_f32_e32 v238, v25, v238                              // 0000000077A4: 0BDDDD19
	v_mul_f32_e32 v239, v25, v239                              // 0000000077A8: 0BDFDF19
	v_mul_f32_dpp v236, v13, v236 row_newbcast:8 row_mask:0xf bank_mask:0xf// 0000000077AC: 0BD9D8FA FF01580D
	v_mul_f32_dpp v237, v13, v237 row_newbcast:9 row_mask:0xf bank_mask:0xf// 0000000077B4: 0BDBDAFA FF01590D
	v_mul_f32_dpp v238, v13, v238 row_newbcast:10 row_mask:0xf bank_mask:0xf// 0000000077BC: 0BDDDCFA FF015A0D
	v_mul_f32_dpp v239, v13, v239 row_newbcast:11 row_mask:0xf bank_mask:0xf// 0000000077C4: 0BDFDEFA FF015B0D
	v_mul_f32_e32 v236, v21, v236                              // 0000000077CC: 0BD9D915
	v_mul_f32_e32 v237, v21, v237                              // 0000000077D0: 0BDBDB15
	v_mul_f32_e32 v238, v21, v238                              // 0000000077D4: 0BDDDD15
	v_mul_f32_e32 v239, v21, v239                              // 0000000077D8: 0BDFDF15
	v_mul_f32_e32 v240, v24, v240                              // 0000000077DC: 0BE1E118
	v_mul_f32_e32 v241, v24, v241                              // 0000000077E0: 0BE3E318
	v_mul_f32_e32 v242, v24, v242                              // 0000000077E4: 0BE5E518
	v_mul_f32_e32 v243, v24, v243                              // 0000000077E8: 0BE7E718
	v_mul_f32_dpp v240, v13, v240 row_newbcast:12 row_mask:0xf bank_mask:0xf// 0000000077EC: 0BE1E0FA FF015C0D
	v_mul_f32_dpp v241, v13, v241 row_newbcast:13 row_mask:0xf bank_mask:0xf// 0000000077F4: 0BE3E2FA FF015D0D
	v_mul_f32_dpp v242, v13, v242 row_newbcast:14 row_mask:0xf bank_mask:0xf// 0000000077FC: 0BE5E4FA FF015E0D
	v_mul_f32_dpp v243, v13, v243 row_newbcast:15 row_mask:0xf bank_mask:0xf// 000000007804: 0BE7E6FA FF015F0D
	v_mul_f32_e32 v240, v20, v240                              // 00000000780C: 0BE1E114
	v_mul_f32_e32 v241, v20, v241                              // 000000007810: 0BE3E314
	v_mul_f32_e32 v242, v20, v242                              // 000000007814: 0BE5E514
	v_mul_f32_e32 v243, v20, v243                              // 000000007818: 0BE7E714
	v_mul_f32_e32 v244, v25, v244                              // 00000000781C: 0BE9E919
	v_mul_f32_e32 v245, v25, v245                              // 000000007820: 0BEBEB19
	v_mul_f32_e32 v246, v25, v246                              // 000000007824: 0BEDED19
	v_mul_f32_e32 v247, v25, v247                              // 000000007828: 0BEFEF19
	v_mul_f32_dpp v244, v13, v244 row_newbcast:12 row_mask:0xf bank_mask:0xf// 00000000782C: 0BE9E8FA FF015C0D
	v_mul_f32_dpp v245, v13, v245 row_newbcast:13 row_mask:0xf bank_mask:0xf// 000000007834: 0BEBEAFA FF015D0D
	v_mul_f32_dpp v246, v13, v246 row_newbcast:14 row_mask:0xf bank_mask:0xf// 00000000783C: 0BEDECFA FF015E0D
	v_mul_f32_dpp v247, v13, v247 row_newbcast:15 row_mask:0xf bank_mask:0xf// 000000007844: 0BEFEEFA FF015F0D
	v_mul_f32_e32 v244, v21, v244                              // 00000000784C: 0BE9E915
	v_mul_f32_e32 v245, v21, v245                              // 000000007850: 0BEBEB15
	v_mul_f32_e32 v246, v21, v246                              // 000000007854: 0BEDED15
	v_mul_f32_e32 v247, v21, v247                              // 000000007858: 0BEFEF15
	v_cmp_u_f32_e64 s[48:49], v216, v216                       // 00000000785C: D0480030 0003B1D8
	v_add3_u32 v45, v216, v48, 1                               // 000000007864: D1FF002D 020661D8
	v_cndmask_b32_e64 v52, v45, v47, s[48:49]                  // 00000000786C: D1000034 00C25F2D
	v_cmp_u_f32_e64 s[48:49], v217, v217                       // 000000007874: D0480030 0003B3D9
	v_add3_u32 v45, v217, v48, 1                               // 00000000787C: D1FF002D 020661D9
	v_cndmask_b32_e64 v53, v45, v47, s[48:49]                  // 000000007884: D1000035 00C25F2D
	v_perm_b32 v216, v53, v52, s52                             // 00000000788C: D1ED00D8 00D26935
	v_cmp_u_f32_e64 s[48:49], v218, v218                       // 000000007894: D0480030 0003B5DA
	v_add3_u32 v45, v218, v48, 1                               // 00000000789C: D1FF002D 020661DA
	v_cndmask_b32_e64 v52, v45, v47, s[48:49]                  // 0000000078A4: D1000034 00C25F2D
	v_cmp_u_f32_e64 s[48:49], v219, v219                       // 0000000078AC: D0480030 0003B7DB
	v_add3_u32 v45, v219, v48, 1                               // 0000000078B4: D1FF002D 020661DB
	v_cndmask_b32_e64 v53, v45, v47, s[48:49]                  // 0000000078BC: D1000035 00C25F2D
	v_perm_b32 v217, v53, v52, s52                             // 0000000078C4: D1ED00D9 00D26935
	v_cmp_u_f32_e64 s[48:49], v220, v220                       // 0000000078CC: D0480030 0003B9DC
	v_add3_u32 v45, v220, v48, 1                               // 0000000078D4: D1FF002D 020661DC
	v_cndmask_b32_e64 v52, v45, v47, s[48:49]                  // 0000000078DC: D1000034 00C25F2D
	v_cmp_u_f32_e64 s[48:49], v221, v221                       // 0000000078E4: D0480030 0003BBDD
	v_add3_u32 v45, v221, v48, 1                               // 0000000078EC: D1FF002D 020661DD
	v_cndmask_b32_e64 v53, v45, v47, s[48:49]                  // 0000000078F4: D1000035 00C25F2D
	v_perm_b32 v218, v53, v52, s52                             // 0000000078FC: D1ED00DA 00D26935
	v_cmp_u_f32_e64 s[48:49], v222, v222                       // 000000007904: D0480030 0003BDDE
	v_add3_u32 v45, v222, v48, 1                               // 00000000790C: D1FF002D 020661DE
	v_cndmask_b32_e64 v52, v45, v47, s[48:49]                  // 000000007914: D1000034 00C25F2D
	v_cmp_u_f32_e64 s[48:49], v223, v223                       // 00000000791C: D0480030 0003BFDF
	v_add3_u32 v45, v223, v48, 1                               // 000000007924: D1FF002D 020661DF
	v_cndmask_b32_e64 v53, v45, v47, s[48:49]                  // 00000000792C: D1000035 00C25F2D
	v_perm_b32 v219, v53, v52, s52                             // 000000007934: D1ED00DB 00D26935
	v_cmp_u_f32_e64 s[48:49], v224, v224                       // 00000000793C: D0480030 0003C1E0
	v_add3_u32 v45, v224, v48, 1                               // 000000007944: D1FF002D 020661E0
	v_cndmask_b32_e64 v52, v45, v47, s[48:49]                  // 00000000794C: D1000034 00C25F2D
	v_cmp_u_f32_e64 s[48:49], v225, v225                       // 000000007954: D0480030 0003C3E1
	v_add3_u32 v45, v225, v48, 1                               // 00000000795C: D1FF002D 020661E1
	v_cndmask_b32_e64 v53, v45, v47, s[48:49]                  // 000000007964: D1000035 00C25F2D
	v_perm_b32 v220, v53, v52, s52                             // 00000000796C: D1ED00DC 00D26935
	v_cmp_u_f32_e64 s[48:49], v226, v226                       // 000000007974: D0480030 0003C5E2
	v_add3_u32 v45, v226, v48, 1                               // 00000000797C: D1FF002D 020661E2
	v_cndmask_b32_e64 v52, v45, v47, s[48:49]                  // 000000007984: D1000034 00C25F2D
	v_cmp_u_f32_e64 s[48:49], v227, v227                       // 00000000798C: D0480030 0003C7E3
	v_add3_u32 v45, v227, v48, 1                               // 000000007994: D1FF002D 020661E3
	v_cndmask_b32_e64 v53, v45, v47, s[48:49]                  // 00000000799C: D1000035 00C25F2D
	v_perm_b32 v221, v53, v52, s52                             // 0000000079A4: D1ED00DD 00D26935
	v_cmp_u_f32_e64 s[48:49], v228, v228                       // 0000000079AC: D0480030 0003C9E4
	v_add3_u32 v45, v228, v48, 1                               // 0000000079B4: D1FF002D 020661E4
	v_cndmask_b32_e64 v52, v45, v47, s[48:49]                  // 0000000079BC: D1000034 00C25F2D
	v_cmp_u_f32_e64 s[48:49], v229, v229                       // 0000000079C4: D0480030 0003CBE5
	v_add3_u32 v45, v229, v48, 1                               // 0000000079CC: D1FF002D 020661E5
	v_cndmask_b32_e64 v53, v45, v47, s[48:49]                  // 0000000079D4: D1000035 00C25F2D
	v_perm_b32 v222, v53, v52, s52                             // 0000000079DC: D1ED00DE 00D26935
	v_cmp_u_f32_e64 s[48:49], v230, v230                       // 0000000079E4: D0480030 0003CDE6
	v_add3_u32 v45, v230, v48, 1                               // 0000000079EC: D1FF002D 020661E6
	v_cndmask_b32_e64 v52, v45, v47, s[48:49]                  // 0000000079F4: D1000034 00C25F2D
	v_cmp_u_f32_e64 s[48:49], v231, v231                       // 0000000079FC: D0480030 0003CFE7
	v_add3_u32 v45, v231, v48, 1                               // 000000007A04: D1FF002D 020661E7
	v_cndmask_b32_e64 v53, v45, v47, s[48:49]                  // 000000007A0C: D1000035 00C25F2D
	v_perm_b32 v223, v53, v52, s52                             // 000000007A14: D1ED00DF 00D26935
	v_cmp_u_f32_e64 s[48:49], v232, v232                       // 000000007A1C: D0480030 0003D1E8
	v_add3_u32 v45, v232, v48, 1                               // 000000007A24: D1FF002D 020661E8
	v_cndmask_b32_e64 v52, v45, v47, s[48:49]                  // 000000007A2C: D1000034 00C25F2D
	v_cmp_u_f32_e64 s[48:49], v233, v233                       // 000000007A34: D0480030 0003D3E9
	v_add3_u32 v45, v233, v48, 1                               // 000000007A3C: D1FF002D 020661E9
	v_cndmask_b32_e64 v53, v45, v47, s[48:49]                  // 000000007A44: D1000035 00C25F2D
	v_perm_b32 v224, v53, v52, s52                             // 000000007A4C: D1ED00E0 00D26935
	v_cmp_u_f32_e64 s[48:49], v234, v234                       // 000000007A54: D0480030 0003D5EA
	v_add3_u32 v45, v234, v48, 1                               // 000000007A5C: D1FF002D 020661EA
	v_cndmask_b32_e64 v52, v45, v47, s[48:49]                  // 000000007A64: D1000034 00C25F2D
	v_cmp_u_f32_e64 s[48:49], v235, v235                       // 000000007A6C: D0480030 0003D7EB
	v_add3_u32 v45, v235, v48, 1                               // 000000007A74: D1FF002D 020661EB
	v_cndmask_b32_e64 v53, v45, v47, s[48:49]                  // 000000007A7C: D1000035 00C25F2D
	v_perm_b32 v225, v53, v52, s52                             // 000000007A84: D1ED00E1 00D26935
	v_cmp_u_f32_e64 s[48:49], v236, v236                       // 000000007A8C: D0480030 0003D9EC
	v_add3_u32 v45, v236, v48, 1                               // 000000007A94: D1FF002D 020661EC
	v_cndmask_b32_e64 v52, v45, v47, s[48:49]                  // 000000007A9C: D1000034 00C25F2D
	v_cmp_u_f32_e64 s[48:49], v237, v237                       // 000000007AA4: D0480030 0003DBED
	v_add3_u32 v45, v237, v48, 1                               // 000000007AAC: D1FF002D 020661ED
	v_cndmask_b32_e64 v53, v45, v47, s[48:49]                  // 000000007AB4: D1000035 00C25F2D
	v_perm_b32 v226, v53, v52, s52                             // 000000007ABC: D1ED00E2 00D26935
	v_cmp_u_f32_e64 s[48:49], v238, v238                       // 000000007AC4: D0480030 0003DDEE
	v_add3_u32 v45, v238, v48, 1                               // 000000007ACC: D1FF002D 020661EE
	v_cndmask_b32_e64 v52, v45, v47, s[48:49]                  // 000000007AD4: D1000034 00C25F2D
	v_cmp_u_f32_e64 s[48:49], v239, v239                       // 000000007ADC: D0480030 0003DFEF
	v_add3_u32 v45, v239, v48, 1                               // 000000007AE4: D1FF002D 020661EF
	v_cndmask_b32_e64 v53, v45, v47, s[48:49]                  // 000000007AEC: D1000035 00C25F2D
	v_perm_b32 v227, v53, v52, s52                             // 000000007AF4: D1ED00E3 00D26935
	v_cmp_u_f32_e64 s[48:49], v240, v240                       // 000000007AFC: D0480030 0003E1F0
	v_add3_u32 v45, v240, v48, 1                               // 000000007B04: D1FF002D 020661F0
	v_cndmask_b32_e64 v52, v45, v47, s[48:49]                  // 000000007B0C: D1000034 00C25F2D
	v_cmp_u_f32_e64 s[48:49], v241, v241                       // 000000007B14: D0480030 0003E3F1
	v_add3_u32 v45, v241, v48, 1                               // 000000007B1C: D1FF002D 020661F1
	v_cndmask_b32_e64 v53, v45, v47, s[48:49]                  // 000000007B24: D1000035 00C25F2D
	v_perm_b32 v228, v53, v52, s52                             // 000000007B2C: D1ED00E4 00D26935
	v_cmp_u_f32_e64 s[48:49], v242, v242                       // 000000007B34: D0480030 0003E5F2
	v_add3_u32 v45, v242, v48, 1                               // 000000007B3C: D1FF002D 020661F2
	v_cndmask_b32_e64 v52, v45, v47, s[48:49]                  // 000000007B44: D1000034 00C25F2D
	v_cmp_u_f32_e64 s[48:49], v243, v243                       // 000000007B4C: D0480030 0003E7F3
	v_add3_u32 v45, v243, v48, 1                               // 000000007B54: D1FF002D 020661F3
	v_cndmask_b32_e64 v53, v45, v47, s[48:49]                  // 000000007B5C: D1000035 00C25F2D
	v_perm_b32 v229, v53, v52, s52                             // 000000007B64: D1ED00E5 00D26935
	v_cmp_u_f32_e64 s[48:49], v244, v244                       // 000000007B6C: D0480030 0003E9F4
	v_add3_u32 v45, v244, v48, 1                               // 000000007B74: D1FF002D 020661F4
	v_cndmask_b32_e64 v52, v45, v47, s[48:49]                  // 000000007B7C: D1000034 00C25F2D
	v_cmp_u_f32_e64 s[48:49], v245, v245                       // 000000007B84: D0480030 0003EBF5
	v_add3_u32 v45, v245, v48, 1                               // 000000007B8C: D1FF002D 020661F5
	v_cndmask_b32_e64 v53, v45, v47, s[48:49]                  // 000000007B94: D1000035 00C25F2D
	v_perm_b32 v230, v53, v52, s52                             // 000000007B9C: D1ED00E6 00D26935
	v_cmp_u_f32_e64 s[48:49], v246, v246                       // 000000007BA4: D0480030 0003EDF6
	v_add3_u32 v45, v246, v48, 1                               // 000000007BAC: D1FF002D 020661F6
	v_cndmask_b32_e64 v52, v45, v47, s[48:49]                  // 000000007BB4: D1000034 00C25F2D
	v_cmp_u_f32_e64 s[48:49], v247, v247                       // 000000007BBC: D0480030 0003EFF7
	v_add3_u32 v45, v247, v48, 1                               // 000000007BC4: D1FF002D 020661F7
	v_cndmask_b32_e64 v53, v45, v47, s[48:49]                  // 000000007BCC: D1000035 00C25F2D
	v_perm_b32 v231, v53, v52, s52                             // 000000007BD4: D1ED00E7 00D26935
	s_cmp_ge_u32 s80, 0x200                                    // 000000007BDC: BF09FF50 00000200
	s_cselect_b32 s59, 0x200, s59                              // 000000007BE4: 853B3BFF 00000200
	s_setvskip s20, 0                                          // 000000007BEC: BF108014
	global_atomic_pk_add_bf16 v80, v64, s[8:9]                 // 000000007BF0: DD488000 00084050
	s_setvskip 0, 0                                            // 000000007BF8: BF108080
	s_setvskip s20, 0                                          // 000000007BFC: BF108014
	global_atomic_pk_add_bf16 v80, v65, s[8:9] offset:256      // 000000007C00: DD488100 00084150
	s_setvskip 0, 0                                            // 000000007C08: BF108080
	s_setvskip s20, 1                                          // 000000007C0C: BF108114
	global_atomic_pk_add_bf16 v82, v66, s[8:9]                 // 000000007C10: DD488000 00084252
	s_setvskip 0, 0                                            // 000000007C18: BF108080
	s_setvskip s20, 1                                          // 000000007C1C: BF108114
	global_atomic_pk_add_bf16 v82, v67, s[8:9] offset:256      // 000000007C20: DD488100 00084352
	s_setvskip 0, 0                                            // 000000007C28: BF108080
	s_setvskip s20, 2                                          // 000000007C2C: BF108214
	global_atomic_pk_add_bf16 v84, v68, s[8:9]                 // 000000007C30: DD488000 00084454
	s_setvskip 0, 0                                            // 000000007C38: BF108080
	s_setvskip s20, 2                                          // 000000007C3C: BF108214
	global_atomic_pk_add_bf16 v84, v69, s[8:9] offset:256      // 000000007C40: DD488100 00084554
	s_setvskip 0, 0                                            // 000000007C48: BF108080
	s_setvskip s20, 3                                          // 000000007C4C: BF108314
	global_atomic_pk_add_bf16 v86, v70, s[8:9]                 // 000000007C50: DD488000 00084656
	s_setvskip 0, 0                                            // 000000007C58: BF108080
	s_setvskip s20, 3                                          // 000000007C5C: BF108314
	global_atomic_pk_add_bf16 v86, v71, s[8:9] offset:256      // 000000007C60: DD488100 00084756
	s_setvskip 0, 0                                            // 000000007C68: BF108080
	s_setvskip s20, 4                                          // 000000007C6C: BF108414
	global_atomic_pk_add_bf16 v88, v72, s[8:9]                 // 000000007C70: DD488000 00084858
	s_setvskip 0, 0                                            // 000000007C78: BF108080
	s_setvskip s20, 4                                          // 000000007C7C: BF108414
	global_atomic_pk_add_bf16 v88, v73, s[8:9] offset:256      // 000000007C80: DD488100 00084958
	s_setvskip 0, 0                                            // 000000007C88: BF108080
	s_setvskip s20, 5                                          // 000000007C8C: BF108514
	global_atomic_pk_add_bf16 v90, v74, s[8:9]                 // 000000007C90: DD488000 00084A5A
	s_setvskip 0, 0                                            // 000000007C98: BF108080
	s_setvskip s20, 5                                          // 000000007C9C: BF108514
	global_atomic_pk_add_bf16 v90, v75, s[8:9] offset:256      // 000000007CA0: DD488100 00084B5A
	s_setvskip 0, 0                                            // 000000007CA8: BF108080
	s_setvskip s20, 6                                          // 000000007CAC: BF108614
	global_atomic_pk_add_bf16 v92, v76, s[8:9]                 // 000000007CB0: DD488000 00084C5C
	s_setvskip 0, 0                                            // 000000007CB8: BF108080
	s_setvskip s20, 6                                          // 000000007CBC: BF108614
	global_atomic_pk_add_bf16 v92, v77, s[8:9] offset:256      // 000000007CC0: DD488100 00084D5C
	s_setvskip 0, 0                                            // 000000007CC8: BF108080
	s_setvskip s20, 7                                          // 000000007CCC: BF108714
	global_atomic_pk_add_bf16 v94, v78, s[8:9]                 // 000000007CD0: DD488000 00084E5E
	s_setvskip 0, 0                                            // 000000007CD8: BF108080
	s_setvskip s20, 7                                          // 000000007CDC: BF108714
	global_atomic_pk_add_bf16 v94, v79, s[8:9] offset:256      // 000000007CE0: DD488100 00084F5E
	s_setvskip 0, 0                                            // 000000007CE8: BF108080
	s_add_u32 s8, s59, s8                                      // 000000007CEC: 8008083B
	s_addc_u32 s9, 0, s9                                       // 000000007CF0: 82090980
	s_addk_i32 s80, 0x100                                      // 000000007CF4: B7500100
	s_cmp_lt_i32 s80, s81                                      // 000000007CF8: BF045150
	s_cbranch_scc0 label_13C1                                  // 000000007CFC: BF840001
	s_branch label_0D9E                                        // 000000007D00: BF82F9DD

0000000000007d04 <label_13C1>:
	s_nop 0                                                    // 000000007D04: BF800000
	s_nop 0                                                    // 000000007D08: BF800000
	s_branch label_24FB                                        // 000000007D0C: BF821137

0000000000007d10 <label_13C4>:
	s_waitcnt vmcnt(20) lgkmcnt(0)                             // 000000007D10: BF8C4074
	s_barrier                                                  // 000000007D14: BF8A0000
	v_mfma_f32_16x16x32_fp8_fp8 v[128:131], a[0:1], v[184:185], v[128:131]// 000000007D18: D3F30080 0E037100
	buffer_load_dwordx4 a[112:115], v34, s[92:95], 0 offen     // 000000007D20: E05C1000 80977022
	v_mfma_f32_16x16x32_fp8_fp8 v[128:131], a[2:3], v[186:187], v[128:131]// 000000007D28: D3F30080 0E037502
	v_mfma_f32_16x16x32_fp8_fp8 v[128:131], a[4:5], v[188:189], v[128:131]// 000000007D30: D3F30080 0E037904
	buffer_load_dword v26, s[20:23], 0 offen lds               // 000000007D38: E0511000 8005001A
	s_add_u32 m0, 0x100, s51                                   // 000000007D40: 807C33FF 00000100
	v_mfma_f32_16x16x32_fp8_fp8 v[128:131], a[6:7], v[190:191], v[128:131]// 000000007D48: D3F30080 0E037D06
	v_mfma_f32_16x16x32_fp8_fp8 v[128:131], a[8:9], v[192:193], v[128:131]// 000000007D50: D3F30080 0E038108
	buffer_load_dwordx4 a[116:119], v34, s[92:95], 0 offen offset:1024// 000000007D58: E05C1400 80977422
	v_mfma_f32_16x16x32_fp8_fp8 v[128:131], a[10:11], v[194:195], v[128:131]// 000000007D60: D3F30080 0E03850A
	v_mfma_f32_16x16x32_fp8_fp8 v[128:131], a[12:13], v[196:197], v[128:131]// 000000007D68: D3F30080 0E03890C
	buffer_load_dword v27, s[20:23], 0 offen lds               // 000000007D70: E0511000 8005001B
	s_add_u32 m0, 0x200, s51                                   // 000000007D78: 807C33FF 00000200
	v_mfma_f32_16x16x32_fp8_fp8 v[128:131], a[14:15], v[198:199], v[128:131]// 000000007D80: D3F30080 0E038D0E
	v_mfma_f32_16x16x32_fp8_fp8 v[132:135], a[0:1], v[200:201], v[132:135]// 000000007D88: D3F30084 0E139100
	buffer_load_dwordx4 a[120:123], v34, s[92:95], 0 offen offset:2048// 000000007D90: E05C1800 80977822
	v_mfma_f32_16x16x32_fp8_fp8 v[132:135], a[2:3], v[202:203], v[132:135]// 000000007D98: D3F30084 0E139502
	v_mfma_f32_16x16x32_fp8_fp8 v[132:135], a[4:5], v[204:205], v[132:135]// 000000007DA0: D3F30084 0E139904
	buffer_load_dword v28, s[20:23], 0 offen lds               // 000000007DA8: E0511000 8005001C
	s_add_u32 m0, 0x300, s51                                   // 000000007DB0: 807C33FF 00000300
	v_mfma_f32_16x16x32_fp8_fp8 v[132:135], a[6:7], v[206:207], v[132:135]// 000000007DB8: D3F30084 0E139D06
	v_mfma_f32_16x16x32_fp8_fp8 v[132:135], a[8:9], v[208:209], v[132:135]// 000000007DC0: D3F30084 0E13A108
	buffer_load_dwordx4 a[124:127], v34, s[92:95], 0 offen offset:3072// 000000007DC8: E05C1C00 80977C22
	v_mfma_f32_16x16x32_fp8_fp8 v[132:135], a[10:11], v[210:211], v[132:135]// 000000007DD0: D3F30084 0E13A50A
	v_mfma_f32_16x16x32_fp8_fp8 v[132:135], a[12:13], v[212:213], v[132:135]// 000000007DD8: D3F30084 0E13A90C
	buffer_load_dword v29, s[20:23], 0 offen lds               // 000000007DE0: E0511000 8005001D
	s_add_u32 m0, 0x400, s51                                   // 000000007DE8: 807C33FF 00000400
	v_mfma_f32_16x16x32_fp8_fp8 v[132:135], a[14:15], v[214:215], v[132:135]// 000000007DF0: D3F30084 0E13AD0E
	v_mfma_f32_16x16x32_fp8_fp8 v[136:139], a[16:17], v[184:185], v[136:139]// 000000007DF8: D3F30088 0E237110
	buffer_load_dwordx4 a[128:131], v35, s[92:95], 0 offen     // 000000007E00: E05C1000 80978023
	v_mfma_f32_16x16x32_fp8_fp8 v[136:139], a[18:19], v[186:187], v[136:139]// 000000007E08: D3F30088 0E237512
	v_mfma_f32_16x16x32_fp8_fp8 v[136:139], a[20:21], v[188:189], v[136:139]// 000000007E10: D3F30088 0E237914
	buffer_load_dword v30, s[20:23], 0 offen lds               // 000000007E18: E0511000 8005001E
	s_add_u32 m0, 0x500, s51                                   // 000000007E20: 807C33FF 00000500
	v_mfma_f32_16x16x32_fp8_fp8 v[136:139], a[22:23], v[190:191], v[136:139]// 000000007E28: D3F30088 0E237D16
	v_mfma_f32_16x16x32_fp8_fp8 v[136:139], a[24:25], v[192:193], v[136:139]// 000000007E30: D3F30088 0E238118
	buffer_load_dwordx4 a[132:135], v35, s[92:95], 0 offen offset:1024// 000000007E38: E05C1400 80978423
	v_mfma_f32_16x16x32_fp8_fp8 v[136:139], a[26:27], v[194:195], v[136:139]// 000000007E40: D3F30088 0E23851A
	v_mfma_f32_16x16x32_fp8_fp8 v[136:139], a[28:29], v[196:197], v[136:139]// 000000007E48: D3F30088 0E23891C
	buffer_load_dword v31, s[20:23], 0 offen lds               // 000000007E50: E0511000 8005001F
	s_add_u32 m0, 0x600, s51                                   // 000000007E58: 807C33FF 00000600
	v_mfma_f32_16x16x32_fp8_fp8 v[136:139], a[30:31], v[198:199], v[136:139]// 000000007E60: D3F30088 0E238D1E
	v_mfma_f32_16x16x32_fp8_fp8 v[140:143], a[16:17], v[200:201], v[140:143]// 000000007E68: D3F3008C 0E339110
	buffer_load_dwordx4 a[136:139], v35, s[92:95], 0 offen offset:2048// 000000007E70: E05C1800 80978823
	v_mfma_f32_16x16x32_fp8_fp8 v[140:143], a[18:19], v[202:203], v[140:143]// 000000007E78: D3F3008C 0E339512
	v_mfma_f32_16x16x32_fp8_fp8 v[140:143], a[20:21], v[204:205], v[140:143]// 000000007E80: D3F3008C 0E339914
	buffer_load_dword v32, s[20:23], 0 offen lds               // 000000007E88: E0511000 80050020
	s_add_u32 m0, 0x700, s51                                   // 000000007E90: 807C33FF 00000700
	v_mfma_f32_16x16x32_fp8_fp8 v[140:143], a[22:23], v[206:207], v[140:143]// 000000007E98: D3F3008C 0E339D16
	v_mfma_f32_16x16x32_fp8_fp8 v[140:143], a[24:25], v[208:209], v[140:143]// 000000007EA0: D3F3008C 0E33A118
	buffer_load_dwordx4 a[140:143], v35, s[92:95], 0 offen offset:3072// 000000007EA8: E05C1C00 80978C23
	v_mfma_f32_16x16x32_fp8_fp8 v[140:143], a[26:27], v[210:211], v[140:143]// 000000007EB0: D3F3008C 0E33A51A
	v_mfma_f32_16x16x32_fp8_fp8 v[140:143], a[28:29], v[212:213], v[140:143]// 000000007EB8: D3F3008C 0E33A91C
	buffer_load_dword v33, s[20:23], 0 offen lds               // 000000007EC0: E0511000 80050021
	s_add_u32 m0, 0, s50                                       // 000000007EC8: 807C3280
	v_mfma_f32_16x16x32_fp8_fp8 v[140:143], a[30:31], v[214:215], v[140:143]// 000000007ECC: D3F3008C 0E33AD1E
	s_waitcnt vmcnt(32)                                        // 000000007ED4: BF8C8F70
	v_mfma_f32_16x16x32_fp8_fp8 v[144:147], a[32:33], v[184:185], v[144:147]// 000000007ED8: D3F30090 0E437120
	buffer_load_dwordx4 a[144:147], v36, s[92:95], 0 offen     // 000000007EE0: E05C1000 80979024
	v_mfma_f32_16x16x32_fp8_fp8 v[144:147], a[34:35], v[186:187], v[144:147]// 000000007EE8: D3F30090 0E437522
	v_mfma_f32_16x16x32_fp8_fp8 v[144:147], a[36:37], v[188:189], v[144:147]// 000000007EF0: D3F30090 0E437924
	v_mfma_f32_16x16x32_fp8_fp8 v[144:147], a[38:39], v[190:191], v[144:147]// 000000007EF8: D3F30090 0E437D26
	v_mfma_f32_16x16x32_fp8_fp8 v[144:147], a[40:41], v[192:193], v[144:147]// 000000007F00: D3F30090 0E438128
	buffer_load_dwordx4 a[148:151], v36, s[92:95], 0 offen offset:1024// 000000007F08: E05C1400 80979424
	v_mfma_f32_16x16x32_fp8_fp8 v[144:147], a[42:43], v[194:195], v[144:147]// 000000007F10: D3F30090 0E43852A
	v_mfma_f32_16x16x32_fp8_fp8 v[144:147], a[44:45], v[196:197], v[144:147]// 000000007F18: D3F30090 0E43892C
	v_mfma_f32_16x16x32_fp8_fp8 v[144:147], a[46:47], v[198:199], v[144:147]// 000000007F20: D3F30090 0E438D2E
	v_mfma_f32_16x16x32_fp8_fp8 v[148:151], a[32:33], v[200:201], v[148:151]// 000000007F28: D3F30094 0E539120
	buffer_load_dwordx4 a[152:155], v36, s[92:95], 0 offen offset:2048// 000000007F30: E05C1800 80979824
	v_mfma_f32_16x16x32_fp8_fp8 v[148:151], a[34:35], v[202:203], v[148:151]// 000000007F38: D3F30094 0E539522
	v_mfma_f32_16x16x32_fp8_fp8 v[148:151], a[36:37], v[204:205], v[148:151]// 000000007F40: D3F30094 0E539924
	v_mfma_f32_16x16x32_fp8_fp8 v[148:151], a[38:39], v[206:207], v[148:151]// 000000007F48: D3F30094 0E539D26
	v_mfma_f32_16x16x32_fp8_fp8 v[148:151], a[40:41], v[208:209], v[148:151]// 000000007F50: D3F30094 0E53A128
	buffer_load_dwordx4 a[156:159], v36, s[92:95], 0 offen offset:3072// 000000007F58: E05C1C00 80979C24
	v_mfma_f32_16x16x32_fp8_fp8 v[148:151], a[42:43], v[210:211], v[148:151]// 000000007F60: D3F30094 0E53A52A
	v_mfma_f32_16x16x32_fp8_fp8 v[148:151], a[44:45], v[212:213], v[148:151]// 000000007F68: D3F30094 0E53A92C
	v_mfma_f32_16x16x32_fp8_fp8 v[148:151], a[46:47], v[214:215], v[148:151]// 000000007F70: D3F30094 0E53AD2E
	s_waitcnt vmcnt(32)                                        // 000000007F78: BF8C8F70
	v_mfma_f32_16x16x32_fp8_fp8 v[152:155], a[48:49], v[184:185], v[152:155]// 000000007F7C: D3F30098 0E637130
	buffer_load_dwordx4 a[160:163], v37, s[92:95], 0 offen     // 000000007F84: E05C1000 8097A025
	v_mfma_f32_16x16x32_fp8_fp8 v[152:155], a[50:51], v[186:187], v[152:155]// 000000007F8C: D3F30098 0E637532
	v_mfma_f32_16x16x32_fp8_fp8 v[152:155], a[52:53], v[188:189], v[152:155]// 000000007F94: D3F30098 0E637934
	v_mfma_f32_16x16x32_fp8_fp8 v[152:155], a[54:55], v[190:191], v[152:155]// 000000007F9C: D3F30098 0E637D36
	v_mfma_f32_16x16x32_fp8_fp8 v[152:155], a[56:57], v[192:193], v[152:155]// 000000007FA4: D3F30098 0E638138
	buffer_load_dwordx4 a[164:167], v37, s[92:95], 0 offen offset:1024// 000000007FAC: E05C1400 8097A425
	v_mfma_f32_16x16x32_fp8_fp8 v[152:155], a[58:59], v[194:195], v[152:155]// 000000007FB4: D3F30098 0E63853A
	v_mfma_f32_16x16x32_fp8_fp8 v[152:155], a[60:61], v[196:197], v[152:155]// 000000007FBC: D3F30098 0E63893C
	v_mfma_f32_16x16x32_fp8_fp8 v[152:155], a[62:63], v[198:199], v[152:155]// 000000007FC4: D3F30098 0E638D3E
	v_mfma_f32_16x16x32_fp8_fp8 v[156:159], a[48:49], v[200:201], v[156:159]// 000000007FCC: D3F3009C 0E739130
	buffer_load_dwordx4 a[168:171], v37, s[92:95], 0 offen offset:2048// 000000007FD4: E05C1800 8097A825
	v_mfma_f32_16x16x32_fp8_fp8 v[156:159], a[50:51], v[202:203], v[156:159]// 000000007FDC: D3F3009C 0E739532
	v_mfma_f32_16x16x32_fp8_fp8 v[156:159], a[52:53], v[204:205], v[156:159]// 000000007FE4: D3F3009C 0E739934
	v_mfma_f32_16x16x32_fp8_fp8 v[156:159], a[54:55], v[206:207], v[156:159]// 000000007FEC: D3F3009C 0E739D36
	v_mfma_f32_16x16x32_fp8_fp8 v[156:159], a[56:57], v[208:209], v[156:159]// 000000007FF4: D3F3009C 0E73A138
	buffer_load_dwordx4 a[172:175], v37, s[92:95], 0 offen offset:3072// 000000007FFC: E05C1C00 8097AC25
	v_mfma_f32_16x16x32_fp8_fp8 v[156:159], a[58:59], v[210:211], v[156:159]// 000000008004: D3F3009C 0E73A53A
	v_mfma_f32_16x16x32_fp8_fp8 v[156:159], a[60:61], v[212:213], v[156:159]// 00000000800C: D3F3009C 0E73A93C
	v_mfma_f32_16x16x32_fp8_fp8 v[156:159], a[62:63], v[214:215], v[156:159]// 000000008014: D3F3009C 0E73AD3E
	s_waitcnt vmcnt(32)                                        // 00000000801C: BF8C8F70
	v_mfma_f32_16x16x32_fp8_fp8 v[160:163], a[64:65], v[184:185], v[160:163]// 000000008020: D3F300A0 0E837140
	buffer_load_dwordx4 a[176:179], v38, s[92:95], 0 offen     // 000000008028: E05C1000 8097B026
	v_mfma_f32_16x16x32_fp8_fp8 v[160:163], a[66:67], v[186:187], v[160:163]// 000000008030: D3F300A0 0E837542
	v_mfma_f32_16x16x32_fp8_fp8 v[160:163], a[68:69], v[188:189], v[160:163]// 000000008038: D3F300A0 0E837944
	v_mfma_f32_16x16x32_fp8_fp8 v[160:163], a[70:71], v[190:191], v[160:163]// 000000008040: D3F300A0 0E837D46
	v_mfma_f32_16x16x32_fp8_fp8 v[160:163], a[72:73], v[192:193], v[160:163]// 000000008048: D3F300A0 0E838148
	buffer_load_dwordx4 a[180:183], v38, s[92:95], 0 offen offset:1024// 000000008050: E05C1400 8097B426
	v_mfma_f32_16x16x32_fp8_fp8 v[160:163], a[74:75], v[194:195], v[160:163]// 000000008058: D3F300A0 0E83854A
	v_mfma_f32_16x16x32_fp8_fp8 v[160:163], a[76:77], v[196:197], v[160:163]// 000000008060: D3F300A0 0E83894C
	v_mfma_f32_16x16x32_fp8_fp8 v[160:163], a[78:79], v[198:199], v[160:163]// 000000008068: D3F300A0 0E838D4E
	v_mfma_f32_16x16x32_fp8_fp8 v[164:167], a[64:65], v[200:201], v[164:167]// 000000008070: D3F300A4 0E939140
	buffer_load_dwordx4 a[184:187], v38, s[92:95], 0 offen offset:2048// 000000008078: E05C1800 8097B826
	v_mfma_f32_16x16x32_fp8_fp8 v[164:167], a[66:67], v[202:203], v[164:167]// 000000008080: D3F300A4 0E939542
	v_mfma_f32_16x16x32_fp8_fp8 v[164:167], a[68:69], v[204:205], v[164:167]// 000000008088: D3F300A4 0E939944
	v_mfma_f32_16x16x32_fp8_fp8 v[164:167], a[70:71], v[206:207], v[164:167]// 000000008090: D3F300A4 0E939D46
	v_mfma_f32_16x16x32_fp8_fp8 v[164:167], a[72:73], v[208:209], v[164:167]// 000000008098: D3F300A4 0E93A148
	buffer_load_dwordx4 a[188:191], v38, s[92:95], 0 offen offset:3072// 0000000080A0: E05C1C00 8097BC26
	v_mfma_f32_16x16x32_fp8_fp8 v[164:167], a[74:75], v[210:211], v[164:167]// 0000000080A8: D3F300A4 0E93A54A
	v_mfma_f32_16x16x32_fp8_fp8 v[164:167], a[76:77], v[212:213], v[164:167]// 0000000080B0: D3F300A4 0E93A94C
	v_mfma_f32_16x16x32_fp8_fp8 v[164:167], a[78:79], v[214:215], v[164:167]// 0000000080B8: D3F300A4 0E93AD4E
	s_waitcnt vmcnt(32)                                        // 0000000080C0: BF8C8F70
	v_mfma_f32_16x16x32_fp8_fp8 v[168:171], a[80:81], v[184:185], v[168:171]// 0000000080C4: D3F300A8 0EA37150
	buffer_load_dwordx4 a[192:195], v39, s[92:95], 0 offen     // 0000000080CC: E05C1000 8097C027
	v_mfma_f32_16x16x32_fp8_fp8 v[168:171], a[82:83], v[186:187], v[168:171]// 0000000080D4: D3F300A8 0EA37552
	v_mfma_f32_16x16x32_fp8_fp8 v[168:171], a[84:85], v[188:189], v[168:171]// 0000000080DC: D3F300A8 0EA37954
	v_mfma_f32_16x16x32_fp8_fp8 v[168:171], a[86:87], v[190:191], v[168:171]// 0000000080E4: D3F300A8 0EA37D56
	v_mfma_f32_16x16x32_fp8_fp8 v[168:171], a[88:89], v[192:193], v[168:171]// 0000000080EC: D3F300A8 0EA38158
	buffer_load_dwordx4 a[196:199], v39, s[92:95], 0 offen offset:1024// 0000000080F4: E05C1400 8097C427
	v_mfma_f32_16x16x32_fp8_fp8 v[168:171], a[90:91], v[194:195], v[168:171]// 0000000080FC: D3F300A8 0EA3855A
	v_mfma_f32_16x16x32_fp8_fp8 v[168:171], a[92:93], v[196:197], v[168:171]// 000000008104: D3F300A8 0EA3895C
	v_mfma_f32_16x16x32_fp8_fp8 v[168:171], a[94:95], v[198:199], v[168:171]// 00000000810C: D3F300A8 0EA38D5E
	v_mfma_f32_16x16x32_fp8_fp8 v[172:175], a[80:81], v[200:201], v[172:175]// 000000008114: D3F300AC 0EB39150
	buffer_load_dwordx4 a[200:203], v39, s[92:95], 0 offen offset:2048// 00000000811C: E05C1800 8097C827
	v_mfma_f32_16x16x32_fp8_fp8 v[172:175], a[82:83], v[202:203], v[172:175]// 000000008124: D3F300AC 0EB39552
	v_mfma_f32_16x16x32_fp8_fp8 v[172:175], a[84:85], v[204:205], v[172:175]// 00000000812C: D3F300AC 0EB39954
	v_mfma_f32_16x16x32_fp8_fp8 v[172:175], a[86:87], v[206:207], v[172:175]// 000000008134: D3F300AC 0EB39D56
	v_mfma_f32_16x16x32_fp8_fp8 v[172:175], a[88:89], v[208:209], v[172:175]// 00000000813C: D3F300AC 0EB3A158
	buffer_load_dwordx4 a[204:207], v39, s[92:95], 0 offen offset:3072// 000000008144: E05C1C00 8097CC27
	v_mfma_f32_16x16x32_fp8_fp8 v[172:175], a[90:91], v[210:211], v[172:175]// 00000000814C: D3F300AC 0EB3A55A
	v_mfma_f32_16x16x32_fp8_fp8 v[172:175], a[92:93], v[212:213], v[172:175]// 000000008154: D3F300AC 0EB3A95C
	v_mfma_f32_16x16x32_fp8_fp8 v[172:175], a[94:95], v[214:215], v[172:175]// 00000000815C: D3F300AC 0EB3AD5E
	s_waitcnt vmcnt(32)                                        // 000000008164: BF8C8F70
	v_mfma_f32_16x16x32_fp8_fp8 v[176:179], a[96:97], v[184:185], v[176:179]// 000000008168: D3F300B0 0EC37160
	buffer_load_dwordx4 a[208:211], v40, s[92:95], 0 offen     // 000000008170: E05C1000 8097D028
	v_mfma_f32_16x16x32_fp8_fp8 v[176:179], a[98:99], v[186:187], v[176:179]// 000000008178: D3F300B0 0EC37562
	v_mfma_f32_16x16x32_fp8_fp8 v[176:179], a[100:101], v[188:189], v[176:179]// 000000008180: D3F300B0 0EC37964
	v_mfma_f32_16x16x32_fp8_fp8 v[176:179], a[102:103], v[190:191], v[176:179]// 000000008188: D3F300B0 0EC37D66
	v_mfma_f32_16x16x32_fp8_fp8 v[176:179], a[104:105], v[192:193], v[176:179]// 000000008190: D3F300B0 0EC38168
	buffer_load_dwordx4 a[212:215], v40, s[92:95], 0 offen offset:1024// 000000008198: E05C1400 8097D428
	v_mfma_f32_16x16x32_fp8_fp8 v[176:179], a[106:107], v[194:195], v[176:179]// 0000000081A0: D3F300B0 0EC3856A
	v_mfma_f32_16x16x32_fp8_fp8 v[176:179], a[108:109], v[196:197], v[176:179]// 0000000081A8: D3F300B0 0EC3896C
	v_mfma_f32_16x16x32_fp8_fp8 v[176:179], a[110:111], v[198:199], v[176:179]// 0000000081B0: D3F300B0 0EC38D6E
	v_mfma_f32_16x16x32_fp8_fp8 v[180:183], a[96:97], v[200:201], v[180:183]// 0000000081B8: D3F300B4 0ED39160
	buffer_load_dwordx4 a[216:219], v40, s[92:95], 0 offen offset:2048// 0000000081C0: E05C1800 8097D828
	v_mfma_f32_16x16x32_fp8_fp8 v[180:183], a[98:99], v[202:203], v[180:183]// 0000000081C8: D3F300B4 0ED39562
	v_mfma_f32_16x16x32_fp8_fp8 v[180:183], a[100:101], v[204:205], v[180:183]// 0000000081D0: D3F300B4 0ED39964
	v_mfma_f32_16x16x32_fp8_fp8 v[180:183], a[102:103], v[206:207], v[180:183]// 0000000081D8: D3F300B4 0ED39D66
	v_mfma_f32_16x16x32_fp8_fp8 v[180:183], a[104:105], v[208:209], v[180:183]// 0000000081E0: D3F300B4 0ED3A168
	buffer_load_dwordx4 a[220:223], v40, s[92:95], 0 offen offset:3072// 0000000081E8: E05C1C00 8097DC28
	v_mfma_f32_16x16x32_fp8_fp8 v[180:183], a[106:107], v[210:211], v[180:183]// 0000000081F0: D3F300B4 0ED3A56A
	v_mfma_f32_16x16x32_fp8_fp8 v[180:183], a[108:109], v[212:213], v[180:183]// 0000000081F8: D3F300B4 0ED3A96C
	v_mfma_f32_16x16x32_fp8_fp8 v[180:183], a[110:111], v[214:215], v[180:183]// 000000008200: D3F300B4 0ED3AD6E
	s_waitcnt vmcnt(20)                                        // 000000008208: BF8C4F74
	s_barrier                                                  // 00000000820C: BF8A0000
	v_mfma_f32_16x16x32_fp8_fp8 v[64:67], a[112:113], v[184:185], v[64:67]// 000000008210: D3F30040 0D037170
	buffer_load_dwordx4 a[0:3], v34, s[24:27], 0 offen         // 000000008218: E05C1000 80860022
	v_mfma_f32_16x16x32_fp8_fp8 v[64:67], a[114:115], v[186:187], v[64:67]// 000000008220: D3F30040 0D037572
	v_mfma_f32_16x16x32_fp8_fp8 v[64:67], a[116:117], v[188:189], v[64:67]// 000000008228: D3F30040 0D037974
	v_mfma_f32_16x16x32_fp8_fp8 v[64:67], a[118:119], v[190:191], v[64:67]// 000000008230: D3F30040 0D037D76
	v_mfma_f32_16x16x32_fp8_fp8 v[64:67], a[120:121], v[192:193], v[64:67]// 000000008238: D3F30040 0D038178
	buffer_load_dwordx4 a[4:7], v34, s[24:27], 0 offen offset:1024// 000000008240: E05C1400 80860422
	v_mfma_f32_16x16x32_fp8_fp8 v[64:67], a[122:123], v[194:195], v[64:67]// 000000008248: D3F30040 0D03857A
	v_mfma_f32_16x16x32_fp8_fp8 v[64:67], a[124:125], v[196:197], v[64:67]// 000000008250: D3F30040 0D03897C
	v_mfma_f32_16x16x32_fp8_fp8 v[64:67], a[126:127], v[198:199], v[64:67]// 000000008258: D3F30040 0D038D7E
	v_mfma_f32_16x16x32_fp8_fp8 v[68:71], a[112:113], v[200:201], v[68:71]// 000000008260: D3F30044 0D139170
	buffer_load_dwordx4 a[8:11], v34, s[24:27], 0 offen offset:2048// 000000008268: E05C1800 80860822
	v_mfma_f32_16x16x32_fp8_fp8 v[68:71], a[114:115], v[202:203], v[68:71]// 000000008270: D3F30044 0D139572
	v_mfma_f32_16x16x32_fp8_fp8 v[68:71], a[116:117], v[204:205], v[68:71]// 000000008278: D3F30044 0D139974
	v_mfma_f32_16x16x32_fp8_fp8 v[68:71], a[118:119], v[206:207], v[68:71]// 000000008280: D3F30044 0D139D76
	v_mfma_f32_16x16x32_fp8_fp8 v[68:71], a[120:121], v[208:209], v[68:71]// 000000008288: D3F30044 0D13A178
	buffer_load_dwordx4 a[12:15], v34, s[24:27], 0 offen offset:3072// 000000008290: E05C1C00 80860C22
	v_mfma_f32_16x16x32_fp8_fp8 v[68:71], a[122:123], v[210:211], v[68:71]// 000000008298: D3F30044 0D13A57A
	v_mfma_f32_16x16x32_fp8_fp8 v[68:71], a[124:125], v[212:213], v[68:71]// 0000000082A0: D3F30044 0D13A97C
	v_mfma_f32_16x16x32_fp8_fp8 v[68:71], a[126:127], v[214:215], v[68:71]// 0000000082A8: D3F30044 0D13AD7E
	v_mfma_f32_16x16x32_fp8_fp8 v[72:75], a[128:129], v[184:185], v[72:75]// 0000000082B0: D3F30048 0D237180
	buffer_load_dwordx4 a[16:19], v35, s[24:27], 0 offen       // 0000000082B8: E05C1000 80861023
	v_mfma_f32_16x16x32_fp8_fp8 v[72:75], a[130:131], v[186:187], v[72:75]// 0000000082C0: D3F30048 0D237582
	v_mfma_f32_16x16x32_fp8_fp8 v[72:75], a[132:133], v[188:189], v[72:75]// 0000000082C8: D3F30048 0D237984
	v_mfma_f32_16x16x32_fp8_fp8 v[72:75], a[134:135], v[190:191], v[72:75]// 0000000082D0: D3F30048 0D237D86
	v_mfma_f32_16x16x32_fp8_fp8 v[72:75], a[136:137], v[192:193], v[72:75]// 0000000082D8: D3F30048 0D238188
	buffer_load_dwordx4 a[20:23], v35, s[24:27], 0 offen offset:1024// 0000000082E0: E05C1400 80861423
	v_mfma_f32_16x16x32_fp8_fp8 v[72:75], a[138:139], v[194:195], v[72:75]// 0000000082E8: D3F30048 0D23858A
	v_mfma_f32_16x16x32_fp8_fp8 v[72:75], a[140:141], v[196:197], v[72:75]// 0000000082F0: D3F30048 0D23898C
	v_mfma_f32_16x16x32_fp8_fp8 v[72:75], a[142:143], v[198:199], v[72:75]// 0000000082F8: D3F30048 0D238D8E
	v_mfma_f32_16x16x32_fp8_fp8 v[76:79], a[128:129], v[200:201], v[76:79]// 000000008300: D3F3004C 0D339180
	buffer_load_dwordx4 a[24:27], v35, s[24:27], 0 offen offset:2048// 000000008308: E05C1800 80861823
	v_mfma_f32_16x16x32_fp8_fp8 v[76:79], a[130:131], v[202:203], v[76:79]// 000000008310: D3F3004C 0D339582
	v_mfma_f32_16x16x32_fp8_fp8 v[76:79], a[132:133], v[204:205], v[76:79]// 000000008318: D3F3004C 0D339984
	v_mfma_f32_16x16x32_fp8_fp8 v[76:79], a[134:135], v[206:207], v[76:79]// 000000008320: D3F3004C 0D339D86
	v_mfma_f32_16x16x32_fp8_fp8 v[76:79], a[136:137], v[208:209], v[76:79]// 000000008328: D3F3004C 0D33A188
	buffer_load_dwordx4 a[28:31], v35, s[24:27], 0 offen offset:3072// 000000008330: E05C1C00 80861C23
	v_mfma_f32_16x16x32_fp8_fp8 v[76:79], a[138:139], v[210:211], v[76:79]// 000000008338: D3F3004C 0D33A58A
	v_mfma_f32_16x16x32_fp8_fp8 v[76:79], a[140:141], v[212:213], v[76:79]// 000000008340: D3F3004C 0D33A98C
	v_mfma_f32_16x16x32_fp8_fp8 v[76:79], a[142:143], v[214:215], v[76:79]// 000000008348: D3F3004C 0D33AD8E
	s_waitcnt vmcnt(24)                                        // 000000008350: BF8C4F78
	v_mfma_f32_16x16x32_fp8_fp8 v[80:83], a[144:145], v[184:185], v[80:83]// 000000008354: D3F30050 0D437190
	buffer_load_dwordx4 a[32:35], v36, s[24:27], 0 offen       // 00000000835C: E05C1000 80862024
	v_mfma_f32_16x16x32_fp8_fp8 v[80:83], a[146:147], v[186:187], v[80:83]// 000000008364: D3F30050 0D437592
	v_mfma_f32_16x16x32_fp8_fp8 v[80:83], a[148:149], v[188:189], v[80:83]// 00000000836C: D3F30050 0D437994
	ds_read_b128 v[216:219], v2 offset:8320                    // 000000008374: D9FE2080 D8000002
	v_mfma_f32_16x16x32_fp8_fp8 v[80:83], a[150:151], v[190:191], v[80:83]// 00000000837C: D3F30050 0D437D96
	v_mfma_f32_16x16x32_fp8_fp8 v[80:83], a[152:153], v[192:193], v[80:83]// 000000008384: D3F30050 0D438198
	buffer_load_dwordx4 a[36:39], v36, s[24:27], 0 offen offset:1024// 00000000838C: E05C1400 80862424
	v_mfma_f32_16x16x32_fp8_fp8 v[80:83], a[154:155], v[194:195], v[80:83]// 000000008394: D3F30050 0D43859A
	v_mfma_f32_16x16x32_fp8_fp8 v[80:83], a[156:157], v[196:197], v[80:83]// 00000000839C: D3F30050 0D43899C
	ds_read_b128 v[220:223], v2 offset:8384                    // 0000000083A4: D9FE20C0 DC000002
	v_mfma_f32_16x16x32_fp8_fp8 v[80:83], a[158:159], v[198:199], v[80:83]// 0000000083AC: D3F30050 0D438D9E
	v_mfma_f32_16x16x32_fp8_fp8 v[84:87], a[144:145], v[200:201], v[84:87]// 0000000083B4: D3F30054 0D539190
	buffer_load_dwordx4 a[40:43], v36, s[24:27], 0 offen offset:2048// 0000000083BC: E05C1800 80862824
	v_mfma_f32_16x16x32_fp8_fp8 v[84:87], a[146:147], v[202:203], v[84:87]// 0000000083C4: D3F30054 0D539592
	v_mfma_f32_16x16x32_fp8_fp8 v[84:87], a[148:149], v[204:205], v[84:87]// 0000000083CC: D3F30054 0D539994
	ds_read_b128 v[224:227], v2 offset:8448                    // 0000000083D4: D9FE2100 E0000002
	v_mfma_f32_16x16x32_fp8_fp8 v[84:87], a[150:151], v[206:207], v[84:87]// 0000000083DC: D3F30054 0D539D96
	v_mfma_f32_16x16x32_fp8_fp8 v[84:87], a[152:153], v[208:209], v[84:87]// 0000000083E4: D3F30054 0D53A198
	buffer_load_dwordx4 a[44:47], v36, s[24:27], 0 offen offset:3072// 0000000083EC: E05C1C00 80862C24
	v_mfma_f32_16x16x32_fp8_fp8 v[84:87], a[154:155], v[210:211], v[84:87]// 0000000083F4: D3F30054 0D53A59A
	v_mfma_f32_16x16x32_fp8_fp8 v[84:87], a[156:157], v[212:213], v[84:87]// 0000000083FC: D3F30054 0D53A99C
	ds_read_b128 v[228:231], v2 offset:8512                    // 000000008404: D9FE2140 E4000002
	v_mfma_f32_16x16x32_fp8_fp8 v[84:87], a[158:159], v[214:215], v[84:87]// 00000000840C: D3F30054 0D53AD9E
	s_waitcnt vmcnt(24)                                        // 000000008414: BF8C4F78
	v_mfma_f32_16x16x32_fp8_fp8 v[88:91], a[160:161], v[184:185], v[88:91]// 000000008418: D3F30058 0D6371A0
	buffer_load_dwordx4 a[48:51], v37, s[24:27], 0 offen       // 000000008420: E05C1000 80863025
	v_mfma_f32_16x16x32_fp8_fp8 v[88:91], a[162:163], v[186:187], v[88:91]// 000000008428: D3F30058 0D6375A2
	v_mfma_f32_16x16x32_fp8_fp8 v[88:91], a[164:165], v[188:189], v[88:91]// 000000008430: D3F30058 0D6379A4
	ds_read_b128 v[232:235], v2 offset:9344                    // 000000008438: D9FE2480 E8000002
	v_mfma_f32_16x16x32_fp8_fp8 v[88:91], a[166:167], v[190:191], v[88:91]// 000000008440: D3F30058 0D637DA6
	v_mfma_f32_16x16x32_fp8_fp8 v[88:91], a[168:169], v[192:193], v[88:91]// 000000008448: D3F30058 0D6381A8
	buffer_load_dwordx4 a[52:55], v37, s[24:27], 0 offen offset:1024// 000000008450: E05C1400 80863425
	v_mfma_f32_16x16x32_fp8_fp8 v[88:91], a[170:171], v[194:195], v[88:91]// 000000008458: D3F30058 0D6385AA
	v_mfma_f32_16x16x32_fp8_fp8 v[88:91], a[172:173], v[196:197], v[88:91]// 000000008460: D3F30058 0D6389AC
	ds_read_b128 v[236:239], v2 offset:9408                    // 000000008468: D9FE24C0 EC000002
	v_mfma_f32_16x16x32_fp8_fp8 v[88:91], a[174:175], v[198:199], v[88:91]// 000000008470: D3F30058 0D638DAE
	v_mfma_f32_16x16x32_fp8_fp8 v[92:95], a[160:161], v[200:201], v[92:95]// 000000008478: D3F3005C 0D7391A0
	buffer_load_dwordx4 a[56:59], v37, s[24:27], 0 offen offset:2048// 000000008480: E05C1800 80863825
	v_mfma_f32_16x16x32_fp8_fp8 v[92:95], a[162:163], v[202:203], v[92:95]// 000000008488: D3F3005C 0D7395A2
	v_mfma_f32_16x16x32_fp8_fp8 v[92:95], a[164:165], v[204:205], v[92:95]// 000000008490: D3F3005C 0D7399A4
	ds_read_b128 v[240:243], v2 offset:9472                    // 000000008498: D9FE2500 F0000002
	v_mfma_f32_16x16x32_fp8_fp8 v[92:95], a[166:167], v[206:207], v[92:95]// 0000000084A0: D3F3005C 0D739DA6
	v_mfma_f32_16x16x32_fp8_fp8 v[92:95], a[168:169], v[208:209], v[92:95]// 0000000084A8: D3F3005C 0D73A1A8
	buffer_load_dwordx4 a[60:63], v37, s[24:27], 0 offen offset:3072// 0000000084B0: E05C1C00 80863C25
	v_mfma_f32_16x16x32_fp8_fp8 v[92:95], a[170:171], v[210:211], v[92:95]// 0000000084B8: D3F3005C 0D73A5AA
	v_mfma_f32_16x16x32_fp8_fp8 v[92:95], a[172:173], v[212:213], v[92:95]// 0000000084C0: D3F3005C 0D73A9AC
	ds_read_b128 v[244:247], v2 offset:9536                    // 0000000084C8: D9FE2540 F4000002
	v_mfma_f32_16x16x32_fp8_fp8 v[92:95], a[174:175], v[214:215], v[92:95]// 0000000084D0: D3F3005C 0D73ADAE
	s_waitcnt vmcnt(24)                                        // 0000000084D8: BF8C4F78
	v_mfma_f32_16x16x32_fp8_fp8 v[96:99], a[176:177], v[184:185], v[96:99]// 0000000084DC: D3F30060 0D8371B0
	buffer_load_dwordx4 a[64:67], v38, s[24:27], 0 offen       // 0000000084E4: E05C1000 80864026
	v_mfma_f32_16x16x32_fp8_fp8 v[96:99], a[178:179], v[186:187], v[96:99]// 0000000084EC: D3F30060 0D8375B2
	v_mfma_f32_16x16x32_fp8_fp8 v[96:99], a[180:181], v[188:189], v[96:99]// 0000000084F4: D3F30060 0D8379B4
	v_mfma_f32_16x16x32_fp8_fp8 v[96:99], a[182:183], v[190:191], v[96:99]// 0000000084FC: D3F30060 0D837DB6
	v_mfma_f32_16x16x32_fp8_fp8 v[96:99], a[184:185], v[192:193], v[96:99]// 000000008504: D3F30060 0D8381B8
	buffer_load_dwordx4 a[68:71], v38, s[24:27], 0 offen offset:1024// 00000000850C: E05C1400 80864426
	v_mfma_f32_16x16x32_fp8_fp8 v[96:99], a[186:187], v[194:195], v[96:99]// 000000008514: D3F30060 0D8385BA
	v_mfma_f32_16x16x32_fp8_fp8 v[96:99], a[188:189], v[196:197], v[96:99]// 00000000851C: D3F30060 0D8389BC
	v_mfma_f32_16x16x32_fp8_fp8 v[96:99], a[190:191], v[198:199], v[96:99]// 000000008524: D3F30060 0D838DBE
	v_mfma_f32_16x16x32_fp8_fp8 v[100:103], a[176:177], v[200:201], v[100:103]// 00000000852C: D3F30064 0D9391B0
	buffer_load_dwordx4 a[72:75], v38, s[24:27], 0 offen offset:2048// 000000008534: E05C1800 80864826
	v_mfma_f32_16x16x32_fp8_fp8 v[100:103], a[178:179], v[202:203], v[100:103]// 00000000853C: D3F30064 0D9395B2
	v_mfma_f32_16x16x32_fp8_fp8 v[100:103], a[180:181], v[204:205], v[100:103]// 000000008544: D3F30064 0D9399B4
	v_mfma_f32_16x16x32_fp8_fp8 v[100:103], a[182:183], v[206:207], v[100:103]// 00000000854C: D3F30064 0D939DB6
	v_mfma_f32_16x16x32_fp8_fp8 v[100:103], a[184:185], v[208:209], v[100:103]// 000000008554: D3F30064 0D93A1B8
	buffer_load_dwordx4 a[76:79], v38, s[24:27], 0 offen offset:3072// 00000000855C: E05C1C00 80864C26
	v_mfma_f32_16x16x32_fp8_fp8 v[100:103], a[186:187], v[210:211], v[100:103]// 000000008564: D3F30064 0D93A5BA
	v_mfma_f32_16x16x32_fp8_fp8 v[100:103], a[188:189], v[212:213], v[100:103]// 00000000856C: D3F30064 0D93A9BC
	v_mfma_f32_16x16x32_fp8_fp8 v[100:103], a[190:191], v[214:215], v[100:103]// 000000008574: D3F30064 0D93ADBE
	s_waitcnt vmcnt(24)                                        // 00000000857C: BF8C4F78
	v_mfma_f32_16x16x32_fp8_fp8 v[104:107], a[192:193], v[184:185], v[104:107]// 000000008580: D3F30068 0DA371C0
	buffer_load_dwordx4 a[80:83], v39, s[24:27], 0 offen       // 000000008588: E05C1000 80865027
	v_mfma_f32_16x16x32_fp8_fp8 v[104:107], a[194:195], v[186:187], v[104:107]// 000000008590: D3F30068 0DA375C2
	v_mfma_f32_16x16x32_fp8_fp8 v[104:107], a[196:197], v[188:189], v[104:107]// 000000008598: D3F30068 0DA379C4
	v_mfma_f32_16x16x32_fp8_fp8 v[104:107], a[198:199], v[190:191], v[104:107]// 0000000085A0: D3F30068 0DA37DC6
	v_mfma_f32_16x16x32_fp8_fp8 v[104:107], a[200:201], v[192:193], v[104:107]// 0000000085A8: D3F30068 0DA381C8
	buffer_load_dwordx4 a[84:87], v39, s[24:27], 0 offen offset:1024// 0000000085B0: E05C1400 80865427
	v_mfma_f32_16x16x32_fp8_fp8 v[104:107], a[202:203], v[194:195], v[104:107]// 0000000085B8: D3F30068 0DA385CA
	v_mfma_f32_16x16x32_fp8_fp8 v[104:107], a[204:205], v[196:197], v[104:107]// 0000000085C0: D3F30068 0DA389CC
	v_mfma_f32_16x16x32_fp8_fp8 v[104:107], a[206:207], v[198:199], v[104:107]// 0000000085C8: D3F30068 0DA38DCE
	v_mfma_f32_16x16x32_fp8_fp8 v[108:111], a[192:193], v[200:201], v[108:111]// 0000000085D0: D3F3006C 0DB391C0
	buffer_load_dwordx4 a[88:91], v39, s[24:27], 0 offen offset:2048// 0000000085D8: E05C1800 80865827
	v_mfma_f32_16x16x32_fp8_fp8 v[108:111], a[194:195], v[202:203], v[108:111]// 0000000085E0: D3F3006C 0DB395C2
	v_mfma_f32_16x16x32_fp8_fp8 v[108:111], a[196:197], v[204:205], v[108:111]// 0000000085E8: D3F3006C 0DB399C4
	v_mfma_f32_16x16x32_fp8_fp8 v[108:111], a[198:199], v[206:207], v[108:111]// 0000000085F0: D3F3006C 0DB39DC6
	v_mfma_f32_16x16x32_fp8_fp8 v[108:111], a[200:201], v[208:209], v[108:111]// 0000000085F8: D3F3006C 0DB3A1C8
	buffer_load_dwordx4 a[92:95], v39, s[24:27], 0 offen offset:3072// 000000008600: E05C1C00 80865C27
	v_mfma_f32_16x16x32_fp8_fp8 v[108:111], a[202:203], v[210:211], v[108:111]// 000000008608: D3F3006C 0DB3A5CA
	v_mfma_f32_16x16x32_fp8_fp8 v[108:111], a[204:205], v[212:213], v[108:111]// 000000008610: D3F3006C 0DB3A9CC
	v_mfma_f32_16x16x32_fp8_fp8 v[108:111], a[206:207], v[214:215], v[108:111]// 000000008618: D3F3006C 0DB3ADCE
	s_waitcnt vmcnt(24)                                        // 000000008620: BF8C4F78
	v_mfma_f32_16x16x32_fp8_fp8 v[112:115], a[208:209], v[184:185], v[112:115]// 000000008624: D3F30070 0DC371D0
	buffer_load_dwordx4 a[96:99], v40, s[24:27], 0 offen       // 00000000862C: E05C1000 80866028
	v_mfma_f32_16x16x32_fp8_fp8 v[112:115], a[210:211], v[186:187], v[112:115]// 000000008634: D3F30070 0DC375D2
	v_mfma_f32_16x16x32_fp8_fp8 v[112:115], a[212:213], v[188:189], v[112:115]// 00000000863C: D3F30070 0DC379D4
	v_mfma_f32_16x16x32_fp8_fp8 v[112:115], a[214:215], v[190:191], v[112:115]// 000000008644: D3F30070 0DC37DD6
	v_mfma_f32_16x16x32_fp8_fp8 v[112:115], a[216:217], v[192:193], v[112:115]// 00000000864C: D3F30070 0DC381D8
	buffer_load_dwordx4 a[100:103], v40, s[24:27], 0 offen offset:1024// 000000008654: E05C1400 80866428
	v_mfma_f32_16x16x32_fp8_fp8 v[112:115], a[218:219], v[194:195], v[112:115]// 00000000865C: D3F30070 0DC385DA
	v_mfma_f32_16x16x32_fp8_fp8 v[112:115], a[220:221], v[196:197], v[112:115]// 000000008664: D3F30070 0DC389DC
	v_mfma_f32_16x16x32_fp8_fp8 v[112:115], a[222:223], v[198:199], v[112:115]// 00000000866C: D3F30070 0DC38DDE
	v_mfma_f32_16x16x32_fp8_fp8 v[116:119], a[208:209], v[200:201], v[116:119]// 000000008674: D3F30074 0DD391D0
	buffer_load_dwordx4 a[104:107], v40, s[24:27], 0 offen offset:2048// 00000000867C: E05C1800 80866828
	v_mfma_f32_16x16x32_fp8_fp8 v[116:119], a[210:211], v[202:203], v[116:119]// 000000008684: D3F30074 0DD395D2
	v_mfma_f32_16x16x32_fp8_fp8 v[116:119], a[212:213], v[204:205], v[116:119]// 00000000868C: D3F30074 0DD399D4
	v_mfma_f32_16x16x32_fp8_fp8 v[116:119], a[214:215], v[206:207], v[116:119]// 000000008694: D3F30074 0DD39DD6
	v_mfma_f32_16x16x32_fp8_fp8 v[116:119], a[216:217], v[208:209], v[116:119]// 00000000869C: D3F30074 0DD3A1D8
	buffer_load_dwordx4 a[108:111], v40, s[24:27], 0 offen offset:3072// 0000000086A4: E05C1C00 80866C28
	v_mfma_f32_16x16x32_fp8_fp8 v[116:119], a[218:219], v[210:211], v[116:119]// 0000000086AC: D3F30074 0DD3A5DA
	v_mfma_f32_16x16x32_fp8_fp8 v[116:119], a[220:221], v[212:213], v[116:119]// 0000000086B4: D3F30074 0DD3A9DC
	v_mfma_f32_16x16x32_fp8_fp8 v[116:119], a[222:223], v[214:215], v[116:119]// 0000000086BC: D3F30074 0DD3ADDE
	s_add_u32 s60, 0x200, s80                                  // 0000000086C4: 803C50FF 00000200
	s_cmp_lt_u32 s60, s81                                      // 0000000086CC: BF0A513C
	s_cselect_b32 s57, s57, 0                                  // 0000000086D0: 85398039
	s_add_u32 s60, 0x200, s80                                  // 0000000086D4: 803C50FF 00000200
	s_cmp_lt_u32 s60, s81                                      // 0000000086DC: BF0A513C
	s_cselect_b32 s58, s58, 0                                  // 0000000086E0: 853A803A
	s_add_u32 s20, s57, s20                                    // 0000000086E4: 80141439
	s_addc_u32 s21, 0, s21                                     // 0000000086E8: 82151580
	s_add_u32 s24, s58, s24                                    // 0000000086EC: 8018183A
	s_addc_u32 s25, 0, s25                                     // 0000000086F0: 82191980
	s_add_u32 s92, s90, s92                                    // 0000000086F4: 805C5C5A
	s_addc_u32 s93, 0, s93                                     // 0000000086F8: 825D5D80
	s_addk_i32 s80, 0x100                                      // 0000000086FC: B7500100
	s_cmp_lt_i32 s80, s81                                      // 000000008700: BF045150
	s_cbranch_scc0 label_18C1                                  // 000000008704: BF84027F
	s_waitcnt vmcnt(20) lgkmcnt(0)                             // 000000008708: BF8C4074
	s_barrier                                                  // 00000000870C: BF8A0000
	v_mfma_f32_16x16x32_fp8_fp8 v[128:131], a[0:1], v[216:217], v[128:131]// 000000008710: D3F30080 0E03B100
	buffer_load_dwordx4 a[112:115], v34, s[92:95], 0 offen     // 000000008718: E05C1000 80977022
	v_mfma_f32_16x16x32_fp8_fp8 v[128:131], a[2:3], v[218:219], v[128:131]// 000000008720: D3F30080 0E03B502
	v_mfma_f32_16x16x32_fp8_fp8 v[128:131], a[4:5], v[220:221], v[128:131]// 000000008728: D3F30080 0E03B904
	buffer_load_dword v26, s[20:23], 0 offen lds               // 000000008730: E0511000 8005001A
	s_add_u32 m0, 0x100, s50                                   // 000000008738: 807C32FF 00000100
	v_mfma_f32_16x16x32_fp8_fp8 v[128:131], a[6:7], v[222:223], v[128:131]// 000000008740: D3F30080 0E03BD06
	v_mfma_f32_16x16x32_fp8_fp8 v[128:131], a[8:9], v[224:225], v[128:131]// 000000008748: D3F30080 0E03C108
	buffer_load_dwordx4 a[116:119], v34, s[92:95], 0 offen offset:1024// 000000008750: E05C1400 80977422
	v_mfma_f32_16x16x32_fp8_fp8 v[128:131], a[10:11], v[226:227], v[128:131]// 000000008758: D3F30080 0E03C50A
	v_mfma_f32_16x16x32_fp8_fp8 v[128:131], a[12:13], v[228:229], v[128:131]// 000000008760: D3F30080 0E03C90C
	buffer_load_dword v27, s[20:23], 0 offen lds               // 000000008768: E0511000 8005001B
	s_add_u32 m0, 0x200, s50                                   // 000000008770: 807C32FF 00000200
	v_mfma_f32_16x16x32_fp8_fp8 v[128:131], a[14:15], v[230:231], v[128:131]// 000000008778: D3F30080 0E03CD0E
	v_mfma_f32_16x16x32_fp8_fp8 v[132:135], a[0:1], v[232:233], v[132:135]// 000000008780: D3F30084 0E13D100
	buffer_load_dwordx4 a[120:123], v34, s[92:95], 0 offen offset:2048// 000000008788: E05C1800 80977822
	v_mfma_f32_16x16x32_fp8_fp8 v[132:135], a[2:3], v[234:235], v[132:135]// 000000008790: D3F30084 0E13D502
	v_mfma_f32_16x16x32_fp8_fp8 v[132:135], a[4:5], v[236:237], v[132:135]// 000000008798: D3F30084 0E13D904
	buffer_load_dword v28, s[20:23], 0 offen lds               // 0000000087A0: E0511000 8005001C
	s_add_u32 m0, 0x300, s50                                   // 0000000087A8: 807C32FF 00000300
	v_mfma_f32_16x16x32_fp8_fp8 v[132:135], a[6:7], v[238:239], v[132:135]// 0000000087B0: D3F30084 0E13DD06
	v_mfma_f32_16x16x32_fp8_fp8 v[132:135], a[8:9], v[240:241], v[132:135]// 0000000087B8: D3F30084 0E13E108
	buffer_load_dwordx4 a[124:127], v34, s[92:95], 0 offen offset:3072// 0000000087C0: E05C1C00 80977C22
	v_mfma_f32_16x16x32_fp8_fp8 v[132:135], a[10:11], v[242:243], v[132:135]// 0000000087C8: D3F30084 0E13E50A
	v_mfma_f32_16x16x32_fp8_fp8 v[132:135], a[12:13], v[244:245], v[132:135]// 0000000087D0: D3F30084 0E13E90C
	buffer_load_dword v29, s[20:23], 0 offen lds               // 0000000087D8: E0511000 8005001D
	s_add_u32 m0, 0x400, s50                                   // 0000000087E0: 807C32FF 00000400
	v_mfma_f32_16x16x32_fp8_fp8 v[132:135], a[14:15], v[246:247], v[132:135]// 0000000087E8: D3F30084 0E13ED0E
	v_mfma_f32_16x16x32_fp8_fp8 v[136:139], a[16:17], v[216:217], v[136:139]// 0000000087F0: D3F30088 0E23B110
	buffer_load_dwordx4 a[128:131], v35, s[92:95], 0 offen     // 0000000087F8: E05C1000 80978023
	v_mfma_f32_16x16x32_fp8_fp8 v[136:139], a[18:19], v[218:219], v[136:139]// 000000008800: D3F30088 0E23B512
	v_mfma_f32_16x16x32_fp8_fp8 v[136:139], a[20:21], v[220:221], v[136:139]// 000000008808: D3F30088 0E23B914
	buffer_load_dword v30, s[20:23], 0 offen lds               // 000000008810: E0511000 8005001E
	s_add_u32 m0, 0x500, s50                                   // 000000008818: 807C32FF 00000500
	v_mfma_f32_16x16x32_fp8_fp8 v[136:139], a[22:23], v[222:223], v[136:139]// 000000008820: D3F30088 0E23BD16
	v_mfma_f32_16x16x32_fp8_fp8 v[136:139], a[24:25], v[224:225], v[136:139]// 000000008828: D3F30088 0E23C118
	buffer_load_dwordx4 a[132:135], v35, s[92:95], 0 offen offset:1024// 000000008830: E05C1400 80978423
	v_mfma_f32_16x16x32_fp8_fp8 v[136:139], a[26:27], v[226:227], v[136:139]// 000000008838: D3F30088 0E23C51A
	v_mfma_f32_16x16x32_fp8_fp8 v[136:139], a[28:29], v[228:229], v[136:139]// 000000008840: D3F30088 0E23C91C
	buffer_load_dword v31, s[20:23], 0 offen lds               // 000000008848: E0511000 8005001F
	s_add_u32 m0, 0x600, s50                                   // 000000008850: 807C32FF 00000600
	v_mfma_f32_16x16x32_fp8_fp8 v[136:139], a[30:31], v[230:231], v[136:139]// 000000008858: D3F30088 0E23CD1E
	v_mfma_f32_16x16x32_fp8_fp8 v[140:143], a[16:17], v[232:233], v[140:143]// 000000008860: D3F3008C 0E33D110
	buffer_load_dwordx4 a[136:139], v35, s[92:95], 0 offen offset:2048// 000000008868: E05C1800 80978823
	v_mfma_f32_16x16x32_fp8_fp8 v[140:143], a[18:19], v[234:235], v[140:143]// 000000008870: D3F3008C 0E33D512
	v_mfma_f32_16x16x32_fp8_fp8 v[140:143], a[20:21], v[236:237], v[140:143]// 000000008878: D3F3008C 0E33D914
	buffer_load_dword v32, s[20:23], 0 offen lds               // 000000008880: E0511000 80050020
	s_add_u32 m0, 0x700, s50                                   // 000000008888: 807C32FF 00000700
	v_mfma_f32_16x16x32_fp8_fp8 v[140:143], a[22:23], v[238:239], v[140:143]// 000000008890: D3F3008C 0E33DD16
	v_mfma_f32_16x16x32_fp8_fp8 v[140:143], a[24:25], v[240:241], v[140:143]// 000000008898: D3F3008C 0E33E118
	buffer_load_dwordx4 a[140:143], v35, s[92:95], 0 offen offset:3072// 0000000088A0: E05C1C00 80978C23
	v_mfma_f32_16x16x32_fp8_fp8 v[140:143], a[26:27], v[242:243], v[140:143]// 0000000088A8: D3F3008C 0E33E51A
	v_mfma_f32_16x16x32_fp8_fp8 v[140:143], a[28:29], v[244:245], v[140:143]// 0000000088B0: D3F3008C 0E33E91C
	buffer_load_dword v33, s[20:23], 0 offen lds               // 0000000088B8: E0511000 80050021
	s_add_u32 m0, 0, s51                                       // 0000000088C0: 807C3380
	v_mfma_f32_16x16x32_fp8_fp8 v[140:143], a[30:31], v[246:247], v[140:143]// 0000000088C4: D3F3008C 0E33ED1E
	s_waitcnt vmcnt(32)                                        // 0000000088CC: BF8C8F70
	v_mfma_f32_16x16x32_fp8_fp8 v[144:147], a[32:33], v[216:217], v[144:147]// 0000000088D0: D3F30090 0E43B120
	buffer_load_dwordx4 a[144:147], v36, s[92:95], 0 offen     // 0000000088D8: E05C1000 80979024
	v_mfma_f32_16x16x32_fp8_fp8 v[144:147], a[34:35], v[218:219], v[144:147]// 0000000088E0: D3F30090 0E43B522
	v_mfma_f32_16x16x32_fp8_fp8 v[144:147], a[36:37], v[220:221], v[144:147]// 0000000088E8: D3F30090 0E43B924
	v_mfma_f32_16x16x32_fp8_fp8 v[144:147], a[38:39], v[222:223], v[144:147]// 0000000088F0: D3F30090 0E43BD26
	v_mfma_f32_16x16x32_fp8_fp8 v[144:147], a[40:41], v[224:225], v[144:147]// 0000000088F8: D3F30090 0E43C128
	buffer_load_dwordx4 a[148:151], v36, s[92:95], 0 offen offset:1024// 000000008900: E05C1400 80979424
	v_mfma_f32_16x16x32_fp8_fp8 v[144:147], a[42:43], v[226:227], v[144:147]// 000000008908: D3F30090 0E43C52A
	v_mfma_f32_16x16x32_fp8_fp8 v[144:147], a[44:45], v[228:229], v[144:147]// 000000008910: D3F30090 0E43C92C
	v_mfma_f32_16x16x32_fp8_fp8 v[144:147], a[46:47], v[230:231], v[144:147]// 000000008918: D3F30090 0E43CD2E
	v_mfma_f32_16x16x32_fp8_fp8 v[148:151], a[32:33], v[232:233], v[148:151]// 000000008920: D3F30094 0E53D120
	buffer_load_dwordx4 a[152:155], v36, s[92:95], 0 offen offset:2048// 000000008928: E05C1800 80979824
	v_mfma_f32_16x16x32_fp8_fp8 v[148:151], a[34:35], v[234:235], v[148:151]// 000000008930: D3F30094 0E53D522
	v_mfma_f32_16x16x32_fp8_fp8 v[148:151], a[36:37], v[236:237], v[148:151]// 000000008938: D3F30094 0E53D924
	v_mfma_f32_16x16x32_fp8_fp8 v[148:151], a[38:39], v[238:239], v[148:151]// 000000008940: D3F30094 0E53DD26
	v_mfma_f32_16x16x32_fp8_fp8 v[148:151], a[40:41], v[240:241], v[148:151]// 000000008948: D3F30094 0E53E128
	buffer_load_dwordx4 a[156:159], v36, s[92:95], 0 offen offset:3072// 000000008950: E05C1C00 80979C24
	v_mfma_f32_16x16x32_fp8_fp8 v[148:151], a[42:43], v[242:243], v[148:151]// 000000008958: D3F30094 0E53E52A
	v_mfma_f32_16x16x32_fp8_fp8 v[148:151], a[44:45], v[244:245], v[148:151]// 000000008960: D3F30094 0E53E92C
	v_mfma_f32_16x16x32_fp8_fp8 v[148:151], a[46:47], v[246:247], v[148:151]// 000000008968: D3F30094 0E53ED2E
	s_waitcnt vmcnt(32)                                        // 000000008970: BF8C8F70
	v_mfma_f32_16x16x32_fp8_fp8 v[152:155], a[48:49], v[216:217], v[152:155]// 000000008974: D3F30098 0E63B130
	buffer_load_dwordx4 a[160:163], v37, s[92:95], 0 offen     // 00000000897C: E05C1000 8097A025
	v_mfma_f32_16x16x32_fp8_fp8 v[152:155], a[50:51], v[218:219], v[152:155]// 000000008984: D3F30098 0E63B532
	v_mfma_f32_16x16x32_fp8_fp8 v[152:155], a[52:53], v[220:221], v[152:155]// 00000000898C: D3F30098 0E63B934
	v_mfma_f32_16x16x32_fp8_fp8 v[152:155], a[54:55], v[222:223], v[152:155]// 000000008994: D3F30098 0E63BD36
	v_mfma_f32_16x16x32_fp8_fp8 v[152:155], a[56:57], v[224:225], v[152:155]// 00000000899C: D3F30098 0E63C138
	buffer_load_dwordx4 a[164:167], v37, s[92:95], 0 offen offset:1024// 0000000089A4: E05C1400 8097A425
	v_mfma_f32_16x16x32_fp8_fp8 v[152:155], a[58:59], v[226:227], v[152:155]// 0000000089AC: D3F30098 0E63C53A
	v_mfma_f32_16x16x32_fp8_fp8 v[152:155], a[60:61], v[228:229], v[152:155]// 0000000089B4: D3F30098 0E63C93C
	v_mfma_f32_16x16x32_fp8_fp8 v[152:155], a[62:63], v[230:231], v[152:155]// 0000000089BC: D3F30098 0E63CD3E
	v_mfma_f32_16x16x32_fp8_fp8 v[156:159], a[48:49], v[232:233], v[156:159]// 0000000089C4: D3F3009C 0E73D130
	buffer_load_dwordx4 a[168:171], v37, s[92:95], 0 offen offset:2048// 0000000089CC: E05C1800 8097A825
	v_mfma_f32_16x16x32_fp8_fp8 v[156:159], a[50:51], v[234:235], v[156:159]// 0000000089D4: D3F3009C 0E73D532
	v_mfma_f32_16x16x32_fp8_fp8 v[156:159], a[52:53], v[236:237], v[156:159]// 0000000089DC: D3F3009C 0E73D934
	v_mfma_f32_16x16x32_fp8_fp8 v[156:159], a[54:55], v[238:239], v[156:159]// 0000000089E4: D3F3009C 0E73DD36
	v_mfma_f32_16x16x32_fp8_fp8 v[156:159], a[56:57], v[240:241], v[156:159]// 0000000089EC: D3F3009C 0E73E138
	buffer_load_dwordx4 a[172:175], v37, s[92:95], 0 offen offset:3072// 0000000089F4: E05C1C00 8097AC25
	v_mfma_f32_16x16x32_fp8_fp8 v[156:159], a[58:59], v[242:243], v[156:159]// 0000000089FC: D3F3009C 0E73E53A
	v_mfma_f32_16x16x32_fp8_fp8 v[156:159], a[60:61], v[244:245], v[156:159]// 000000008A04: D3F3009C 0E73E93C
	v_mfma_f32_16x16x32_fp8_fp8 v[156:159], a[62:63], v[246:247], v[156:159]// 000000008A0C: D3F3009C 0E73ED3E
	s_waitcnt vmcnt(32)                                        // 000000008A14: BF8C8F70
	v_mfma_f32_16x16x32_fp8_fp8 v[160:163], a[64:65], v[216:217], v[160:163]// 000000008A18: D3F300A0 0E83B140
	buffer_load_dwordx4 a[176:179], v38, s[92:95], 0 offen     // 000000008A20: E05C1000 8097B026
	v_mfma_f32_16x16x32_fp8_fp8 v[160:163], a[66:67], v[218:219], v[160:163]// 000000008A28: D3F300A0 0E83B542
	v_mfma_f32_16x16x32_fp8_fp8 v[160:163], a[68:69], v[220:221], v[160:163]// 000000008A30: D3F300A0 0E83B944
	v_mfma_f32_16x16x32_fp8_fp8 v[160:163], a[70:71], v[222:223], v[160:163]// 000000008A38: D3F300A0 0E83BD46
	v_mfma_f32_16x16x32_fp8_fp8 v[160:163], a[72:73], v[224:225], v[160:163]// 000000008A40: D3F300A0 0E83C148
	buffer_load_dwordx4 a[180:183], v38, s[92:95], 0 offen offset:1024// 000000008A48: E05C1400 8097B426
	v_mfma_f32_16x16x32_fp8_fp8 v[160:163], a[74:75], v[226:227], v[160:163]// 000000008A50: D3F300A0 0E83C54A
	v_mfma_f32_16x16x32_fp8_fp8 v[160:163], a[76:77], v[228:229], v[160:163]// 000000008A58: D3F300A0 0E83C94C
	v_mfma_f32_16x16x32_fp8_fp8 v[160:163], a[78:79], v[230:231], v[160:163]// 000000008A60: D3F300A0 0E83CD4E
	v_mfma_f32_16x16x32_fp8_fp8 v[164:167], a[64:65], v[232:233], v[164:167]// 000000008A68: D3F300A4 0E93D140
	buffer_load_dwordx4 a[184:187], v38, s[92:95], 0 offen offset:2048// 000000008A70: E05C1800 8097B826
	v_mfma_f32_16x16x32_fp8_fp8 v[164:167], a[66:67], v[234:235], v[164:167]// 000000008A78: D3F300A4 0E93D542
	v_mfma_f32_16x16x32_fp8_fp8 v[164:167], a[68:69], v[236:237], v[164:167]// 000000008A80: D3F300A4 0E93D944
	v_mfma_f32_16x16x32_fp8_fp8 v[164:167], a[70:71], v[238:239], v[164:167]// 000000008A88: D3F300A4 0E93DD46
	v_mfma_f32_16x16x32_fp8_fp8 v[164:167], a[72:73], v[240:241], v[164:167]// 000000008A90: D3F300A4 0E93E148
	buffer_load_dwordx4 a[188:191], v38, s[92:95], 0 offen offset:3072// 000000008A98: E05C1C00 8097BC26
	v_mfma_f32_16x16x32_fp8_fp8 v[164:167], a[74:75], v[242:243], v[164:167]// 000000008AA0: D3F300A4 0E93E54A
	v_mfma_f32_16x16x32_fp8_fp8 v[164:167], a[76:77], v[244:245], v[164:167]// 000000008AA8: D3F300A4 0E93E94C
	v_mfma_f32_16x16x32_fp8_fp8 v[164:167], a[78:79], v[246:247], v[164:167]// 000000008AB0: D3F300A4 0E93ED4E
	s_waitcnt vmcnt(32)                                        // 000000008AB8: BF8C8F70
	v_mfma_f32_16x16x32_fp8_fp8 v[168:171], a[80:81], v[216:217], v[168:171]// 000000008ABC: D3F300A8 0EA3B150
	buffer_load_dwordx4 a[192:195], v39, s[92:95], 0 offen     // 000000008AC4: E05C1000 8097C027
	v_mfma_f32_16x16x32_fp8_fp8 v[168:171], a[82:83], v[218:219], v[168:171]// 000000008ACC: D3F300A8 0EA3B552
	v_mfma_f32_16x16x32_fp8_fp8 v[168:171], a[84:85], v[220:221], v[168:171]// 000000008AD4: D3F300A8 0EA3B954
	v_mfma_f32_16x16x32_fp8_fp8 v[168:171], a[86:87], v[222:223], v[168:171]// 000000008ADC: D3F300A8 0EA3BD56
	v_mfma_f32_16x16x32_fp8_fp8 v[168:171], a[88:89], v[224:225], v[168:171]// 000000008AE4: D3F300A8 0EA3C158
	buffer_load_dwordx4 a[196:199], v39, s[92:95], 0 offen offset:1024// 000000008AEC: E05C1400 8097C427
	v_mfma_f32_16x16x32_fp8_fp8 v[168:171], a[90:91], v[226:227], v[168:171]// 000000008AF4: D3F300A8 0EA3C55A
	v_mfma_f32_16x16x32_fp8_fp8 v[168:171], a[92:93], v[228:229], v[168:171]// 000000008AFC: D3F300A8 0EA3C95C
	v_mfma_f32_16x16x32_fp8_fp8 v[168:171], a[94:95], v[230:231], v[168:171]// 000000008B04: D3F300A8 0EA3CD5E
	v_mfma_f32_16x16x32_fp8_fp8 v[172:175], a[80:81], v[232:233], v[172:175]// 000000008B0C: D3F300AC 0EB3D150
	buffer_load_dwordx4 a[200:203], v39, s[92:95], 0 offen offset:2048// 000000008B14: E05C1800 8097C827
	v_mfma_f32_16x16x32_fp8_fp8 v[172:175], a[82:83], v[234:235], v[172:175]// 000000008B1C: D3F300AC 0EB3D552
	v_mfma_f32_16x16x32_fp8_fp8 v[172:175], a[84:85], v[236:237], v[172:175]// 000000008B24: D3F300AC 0EB3D954
	v_mfma_f32_16x16x32_fp8_fp8 v[172:175], a[86:87], v[238:239], v[172:175]// 000000008B2C: D3F300AC 0EB3DD56
	v_mfma_f32_16x16x32_fp8_fp8 v[172:175], a[88:89], v[240:241], v[172:175]// 000000008B34: D3F300AC 0EB3E158
	buffer_load_dwordx4 a[204:207], v39, s[92:95], 0 offen offset:3072// 000000008B3C: E05C1C00 8097CC27
	v_mfma_f32_16x16x32_fp8_fp8 v[172:175], a[90:91], v[242:243], v[172:175]// 000000008B44: D3F300AC 0EB3E55A
	v_mfma_f32_16x16x32_fp8_fp8 v[172:175], a[92:93], v[244:245], v[172:175]// 000000008B4C: D3F300AC 0EB3E95C
	v_mfma_f32_16x16x32_fp8_fp8 v[172:175], a[94:95], v[246:247], v[172:175]// 000000008B54: D3F300AC 0EB3ED5E
	s_waitcnt vmcnt(32)                                        // 000000008B5C: BF8C8F70
	v_mfma_f32_16x16x32_fp8_fp8 v[176:179], a[96:97], v[216:217], v[176:179]// 000000008B60: D3F300B0 0EC3B160
	buffer_load_dwordx4 a[208:211], v40, s[92:95], 0 offen     // 000000008B68: E05C1000 8097D028
	v_mfma_f32_16x16x32_fp8_fp8 v[176:179], a[98:99], v[218:219], v[176:179]// 000000008B70: D3F300B0 0EC3B562
	v_mfma_f32_16x16x32_fp8_fp8 v[176:179], a[100:101], v[220:221], v[176:179]// 000000008B78: D3F300B0 0EC3B964
	v_mfma_f32_16x16x32_fp8_fp8 v[176:179], a[102:103], v[222:223], v[176:179]// 000000008B80: D3F300B0 0EC3BD66
	v_mfma_f32_16x16x32_fp8_fp8 v[176:179], a[104:105], v[224:225], v[176:179]// 000000008B88: D3F300B0 0EC3C168
	buffer_load_dwordx4 a[212:215], v40, s[92:95], 0 offen offset:1024// 000000008B90: E05C1400 8097D428
	v_mfma_f32_16x16x32_fp8_fp8 v[176:179], a[106:107], v[226:227], v[176:179]// 000000008B98: D3F300B0 0EC3C56A
	v_mfma_f32_16x16x32_fp8_fp8 v[176:179], a[108:109], v[228:229], v[176:179]// 000000008BA0: D3F300B0 0EC3C96C
	v_mfma_f32_16x16x32_fp8_fp8 v[176:179], a[110:111], v[230:231], v[176:179]// 000000008BA8: D3F300B0 0EC3CD6E
	v_mfma_f32_16x16x32_fp8_fp8 v[180:183], a[96:97], v[232:233], v[180:183]// 000000008BB0: D3F300B4 0ED3D160
	buffer_load_dwordx4 a[216:219], v40, s[92:95], 0 offen offset:2048// 000000008BB8: E05C1800 8097D828
	v_mfma_f32_16x16x32_fp8_fp8 v[180:183], a[98:99], v[234:235], v[180:183]// 000000008BC0: D3F300B4 0ED3D562
	v_mfma_f32_16x16x32_fp8_fp8 v[180:183], a[100:101], v[236:237], v[180:183]// 000000008BC8: D3F300B4 0ED3D964
	v_mfma_f32_16x16x32_fp8_fp8 v[180:183], a[102:103], v[238:239], v[180:183]// 000000008BD0: D3F300B4 0ED3DD66
	v_mfma_f32_16x16x32_fp8_fp8 v[180:183], a[104:105], v[240:241], v[180:183]// 000000008BD8: D3F300B4 0ED3E168
	buffer_load_dwordx4 a[220:223], v40, s[92:95], 0 offen offset:3072// 000000008BE0: E05C1C00 8097DC28
	v_mfma_f32_16x16x32_fp8_fp8 v[180:183], a[106:107], v[242:243], v[180:183]// 000000008BE8: D3F300B4 0ED3E56A
	v_mfma_f32_16x16x32_fp8_fp8 v[180:183], a[108:109], v[244:245], v[180:183]// 000000008BF0: D3F300B4 0ED3E96C
	v_mfma_f32_16x16x32_fp8_fp8 v[180:183], a[110:111], v[246:247], v[180:183]// 000000008BF8: D3F300B4 0ED3ED6E
	s_waitcnt vmcnt(20)                                        // 000000008C00: BF8C4F74
	s_barrier                                                  // 000000008C04: BF8A0000
	v_mfma_f32_16x16x32_fp8_fp8 v[64:67], a[112:113], v[216:217], v[64:67]// 000000008C08: D3F30040 0D03B170
	buffer_load_dwordx4 a[0:3], v34, s[24:27], 0 offen         // 000000008C10: E05C1000 80860022
	v_mfma_f32_16x16x32_fp8_fp8 v[64:67], a[114:115], v[218:219], v[64:67]// 000000008C18: D3F30040 0D03B572
	v_mfma_f32_16x16x32_fp8_fp8 v[64:67], a[116:117], v[220:221], v[64:67]// 000000008C20: D3F30040 0D03B974
	v_mfma_f32_16x16x32_fp8_fp8 v[64:67], a[118:119], v[222:223], v[64:67]// 000000008C28: D3F30040 0D03BD76
	v_mfma_f32_16x16x32_fp8_fp8 v[64:67], a[120:121], v[224:225], v[64:67]// 000000008C30: D3F30040 0D03C178
	buffer_load_dwordx4 a[4:7], v34, s[24:27], 0 offen offset:1024// 000000008C38: E05C1400 80860422
	v_mfma_f32_16x16x32_fp8_fp8 v[64:67], a[122:123], v[226:227], v[64:67]// 000000008C40: D3F30040 0D03C57A
	v_mfma_f32_16x16x32_fp8_fp8 v[64:67], a[124:125], v[228:229], v[64:67]// 000000008C48: D3F30040 0D03C97C
	v_mfma_f32_16x16x32_fp8_fp8 v[64:67], a[126:127], v[230:231], v[64:67]// 000000008C50: D3F30040 0D03CD7E
	v_mfma_f32_16x16x32_fp8_fp8 v[68:71], a[112:113], v[232:233], v[68:71]// 000000008C58: D3F30044 0D13D170
	buffer_load_dwordx4 a[8:11], v34, s[24:27], 0 offen offset:2048// 000000008C60: E05C1800 80860822
	v_mfma_f32_16x16x32_fp8_fp8 v[68:71], a[114:115], v[234:235], v[68:71]// 000000008C68: D3F30044 0D13D572
	v_mfma_f32_16x16x32_fp8_fp8 v[68:71], a[116:117], v[236:237], v[68:71]// 000000008C70: D3F30044 0D13D974
	v_mfma_f32_16x16x32_fp8_fp8 v[68:71], a[118:119], v[238:239], v[68:71]// 000000008C78: D3F30044 0D13DD76
	v_mfma_f32_16x16x32_fp8_fp8 v[68:71], a[120:121], v[240:241], v[68:71]// 000000008C80: D3F30044 0D13E178
	buffer_load_dwordx4 a[12:15], v34, s[24:27], 0 offen offset:3072// 000000008C88: E05C1C00 80860C22
	v_mfma_f32_16x16x32_fp8_fp8 v[68:71], a[122:123], v[242:243], v[68:71]// 000000008C90: D3F30044 0D13E57A
	v_mfma_f32_16x16x32_fp8_fp8 v[68:71], a[124:125], v[244:245], v[68:71]// 000000008C98: D3F30044 0D13E97C
	v_mfma_f32_16x16x32_fp8_fp8 v[68:71], a[126:127], v[246:247], v[68:71]// 000000008CA0: D3F30044 0D13ED7E
	v_mfma_f32_16x16x32_fp8_fp8 v[72:75], a[128:129], v[216:217], v[72:75]// 000000008CA8: D3F30048 0D23B180
	buffer_load_dwordx4 a[16:19], v35, s[24:27], 0 offen       // 000000008CB0: E05C1000 80861023
	v_mfma_f32_16x16x32_fp8_fp8 v[72:75], a[130:131], v[218:219], v[72:75]// 000000008CB8: D3F30048 0D23B582
	v_mfma_f32_16x16x32_fp8_fp8 v[72:75], a[132:133], v[220:221], v[72:75]// 000000008CC0: D3F30048 0D23B984
	v_mfma_f32_16x16x32_fp8_fp8 v[72:75], a[134:135], v[222:223], v[72:75]// 000000008CC8: D3F30048 0D23BD86
	v_mfma_f32_16x16x32_fp8_fp8 v[72:75], a[136:137], v[224:225], v[72:75]// 000000008CD0: D3F30048 0D23C188
	buffer_load_dwordx4 a[20:23], v35, s[24:27], 0 offen offset:1024// 000000008CD8: E05C1400 80861423
	v_mfma_f32_16x16x32_fp8_fp8 v[72:75], a[138:139], v[226:227], v[72:75]// 000000008CE0: D3F30048 0D23C58A
	v_mfma_f32_16x16x32_fp8_fp8 v[72:75], a[140:141], v[228:229], v[72:75]// 000000008CE8: D3F30048 0D23C98C
	v_mfma_f32_16x16x32_fp8_fp8 v[72:75], a[142:143], v[230:231], v[72:75]// 000000008CF0: D3F30048 0D23CD8E
	v_mfma_f32_16x16x32_fp8_fp8 v[76:79], a[128:129], v[232:233], v[76:79]// 000000008CF8: D3F3004C 0D33D180
	buffer_load_dwordx4 a[24:27], v35, s[24:27], 0 offen offset:2048// 000000008D00: E05C1800 80861823
	v_mfma_f32_16x16x32_fp8_fp8 v[76:79], a[130:131], v[234:235], v[76:79]// 000000008D08: D3F3004C 0D33D582
	v_mfma_f32_16x16x32_fp8_fp8 v[76:79], a[132:133], v[236:237], v[76:79]// 000000008D10: D3F3004C 0D33D984
	v_mfma_f32_16x16x32_fp8_fp8 v[76:79], a[134:135], v[238:239], v[76:79]// 000000008D18: D3F3004C 0D33DD86
	v_mfma_f32_16x16x32_fp8_fp8 v[76:79], a[136:137], v[240:241], v[76:79]// 000000008D20: D3F3004C 0D33E188
	buffer_load_dwordx4 a[28:31], v35, s[24:27], 0 offen offset:3072// 000000008D28: E05C1C00 80861C23
	v_mfma_f32_16x16x32_fp8_fp8 v[76:79], a[138:139], v[242:243], v[76:79]// 000000008D30: D3F3004C 0D33E58A
	v_mfma_f32_16x16x32_fp8_fp8 v[76:79], a[140:141], v[244:245], v[76:79]// 000000008D38: D3F3004C 0D33E98C
	v_mfma_f32_16x16x32_fp8_fp8 v[76:79], a[142:143], v[246:247], v[76:79]// 000000008D40: D3F3004C 0D33ED8E
	s_waitcnt vmcnt(24)                                        // 000000008D48: BF8C4F78
	v_mfma_f32_16x16x32_fp8_fp8 v[80:83], a[144:145], v[216:217], v[80:83]// 000000008D4C: D3F30050 0D43B190
	buffer_load_dwordx4 a[32:35], v36, s[24:27], 0 offen       // 000000008D54: E05C1000 80862024
	v_mfma_f32_16x16x32_fp8_fp8 v[80:83], a[146:147], v[218:219], v[80:83]// 000000008D5C: D3F30050 0D43B592
	v_mfma_f32_16x16x32_fp8_fp8 v[80:83], a[148:149], v[220:221], v[80:83]// 000000008D64: D3F30050 0D43B994
	ds_read_b128 v[184:187], v2                                // 000000008D6C: D9FE0000 B8000002
	v_mfma_f32_16x16x32_fp8_fp8 v[80:83], a[150:151], v[222:223], v[80:83]// 000000008D74: D3F30050 0D43BD96
	v_mfma_f32_16x16x32_fp8_fp8 v[80:83], a[152:153], v[224:225], v[80:83]// 000000008D7C: D3F30050 0D43C198
	buffer_load_dwordx4 a[36:39], v36, s[24:27], 0 offen offset:1024// 000000008D84: E05C1400 80862424
	v_mfma_f32_16x16x32_fp8_fp8 v[80:83], a[154:155], v[226:227], v[80:83]// 000000008D8C: D3F30050 0D43C59A
	v_mfma_f32_16x16x32_fp8_fp8 v[80:83], a[156:157], v[228:229], v[80:83]// 000000008D94: D3F30050 0D43C99C
	ds_read_b128 v[188:191], v2 offset:64                      // 000000008D9C: D9FE0040 BC000002
	v_mfma_f32_16x16x32_fp8_fp8 v[80:83], a[158:159], v[230:231], v[80:83]// 000000008DA4: D3F30050 0D43CD9E
	v_mfma_f32_16x16x32_fp8_fp8 v[84:87], a[144:145], v[232:233], v[84:87]// 000000008DAC: D3F30054 0D53D190
	buffer_load_dwordx4 a[40:43], v36, s[24:27], 0 offen offset:2048// 000000008DB4: E05C1800 80862824
	v_mfma_f32_16x16x32_fp8_fp8 v[84:87], a[146:147], v[234:235], v[84:87]// 000000008DBC: D3F30054 0D53D592
	v_mfma_f32_16x16x32_fp8_fp8 v[84:87], a[148:149], v[236:237], v[84:87]// 000000008DC4: D3F30054 0D53D994
	ds_read_b128 v[192:195], v2 offset:128                     // 000000008DCC: D9FE0080 C0000002
	v_mfma_f32_16x16x32_fp8_fp8 v[84:87], a[150:151], v[238:239], v[84:87]// 000000008DD4: D3F30054 0D53DD96
	v_mfma_f32_16x16x32_fp8_fp8 v[84:87], a[152:153], v[240:241], v[84:87]// 000000008DDC: D3F30054 0D53E198
	buffer_load_dwordx4 a[44:47], v36, s[24:27], 0 offen offset:3072// 000000008DE4: E05C1C00 80862C24
	v_mfma_f32_16x16x32_fp8_fp8 v[84:87], a[154:155], v[242:243], v[84:87]// 000000008DEC: D3F30054 0D53E59A
	v_mfma_f32_16x16x32_fp8_fp8 v[84:87], a[156:157], v[244:245], v[84:87]// 000000008DF4: D3F30054 0D53E99C
	ds_read_b128 v[196:199], v2 offset:192                     // 000000008DFC: D9FE00C0 C4000002
	v_mfma_f32_16x16x32_fp8_fp8 v[84:87], a[158:159], v[246:247], v[84:87]// 000000008E04: D3F30054 0D53ED9E
	s_waitcnt vmcnt(24)                                        // 000000008E0C: BF8C4F78
	v_mfma_f32_16x16x32_fp8_fp8 v[88:91], a[160:161], v[216:217], v[88:91]// 000000008E10: D3F30058 0D63B1A0
	buffer_load_dwordx4 a[48:51], v37, s[24:27], 0 offen       // 000000008E18: E05C1000 80863025
	v_mfma_f32_16x16x32_fp8_fp8 v[88:91], a[162:163], v[218:219], v[88:91]// 000000008E20: D3F30058 0D63B5A2
	v_mfma_f32_16x16x32_fp8_fp8 v[88:91], a[164:165], v[220:221], v[88:91]// 000000008E28: D3F30058 0D63B9A4
	ds_read_b128 v[200:203], v2 offset:1024                    // 000000008E30: D9FE0400 C8000002
	v_mfma_f32_16x16x32_fp8_fp8 v[88:91], a[166:167], v[222:223], v[88:91]// 000000008E38: D3F30058 0D63BDA6
	v_mfma_f32_16x16x32_fp8_fp8 v[88:91], a[168:169], v[224:225], v[88:91]// 000000008E40: D3F30058 0D63C1A8
	buffer_load_dwordx4 a[52:55], v37, s[24:27], 0 offen offset:1024// 000000008E48: E05C1400 80863425
	v_mfma_f32_16x16x32_fp8_fp8 v[88:91], a[170:171], v[226:227], v[88:91]// 000000008E50: D3F30058 0D63C5AA
	v_mfma_f32_16x16x32_fp8_fp8 v[88:91], a[172:173], v[228:229], v[88:91]// 000000008E58: D3F30058 0D63C9AC
	ds_read_b128 v[204:207], v2 offset:1088                    // 000000008E60: D9FE0440 CC000002
	v_mfma_f32_16x16x32_fp8_fp8 v[88:91], a[174:175], v[230:231], v[88:91]// 000000008E68: D3F30058 0D63CDAE
	v_mfma_f32_16x16x32_fp8_fp8 v[92:95], a[160:161], v[232:233], v[92:95]// 000000008E70: D3F3005C 0D73D1A0
	buffer_load_dwordx4 a[56:59], v37, s[24:27], 0 offen offset:2048// 000000008E78: E05C1800 80863825
	v_mfma_f32_16x16x32_fp8_fp8 v[92:95], a[162:163], v[234:235], v[92:95]// 000000008E80: D3F3005C 0D73D5A2
	v_mfma_f32_16x16x32_fp8_fp8 v[92:95], a[164:165], v[236:237], v[92:95]// 000000008E88: D3F3005C 0D73D9A4
	ds_read_b128 v[208:211], v2 offset:1152                    // 000000008E90: D9FE0480 D0000002
	v_mfma_f32_16x16x32_fp8_fp8 v[92:95], a[166:167], v[238:239], v[92:95]// 000000008E98: D3F3005C 0D73DDA6
	v_mfma_f32_16x16x32_fp8_fp8 v[92:95], a[168:169], v[240:241], v[92:95]// 000000008EA0: D3F3005C 0D73E1A8
	buffer_load_dwordx4 a[60:63], v37, s[24:27], 0 offen offset:3072// 000000008EA8: E05C1C00 80863C25
	v_mfma_f32_16x16x32_fp8_fp8 v[92:95], a[170:171], v[242:243], v[92:95]// 000000008EB0: D3F3005C 0D73E5AA
	v_mfma_f32_16x16x32_fp8_fp8 v[92:95], a[172:173], v[244:245], v[92:95]// 000000008EB8: D3F3005C 0D73E9AC
	ds_read_b128 v[212:215], v2 offset:1216                    // 000000008EC0: D9FE04C0 D4000002
	v_mfma_f32_16x16x32_fp8_fp8 v[92:95], a[174:175], v[246:247], v[92:95]// 000000008EC8: D3F3005C 0D73EDAE
	s_waitcnt vmcnt(24)                                        // 000000008ED0: BF8C4F78
	v_mfma_f32_16x16x32_fp8_fp8 v[96:99], a[176:177], v[216:217], v[96:99]// 000000008ED4: D3F30060 0D83B1B0
	buffer_load_dwordx4 a[64:67], v38, s[24:27], 0 offen       // 000000008EDC: E05C1000 80864026
	v_mfma_f32_16x16x32_fp8_fp8 v[96:99], a[178:179], v[218:219], v[96:99]// 000000008EE4: D3F30060 0D83B5B2
	v_mfma_f32_16x16x32_fp8_fp8 v[96:99], a[180:181], v[220:221], v[96:99]// 000000008EEC: D3F30060 0D83B9B4
	v_mfma_f32_16x16x32_fp8_fp8 v[96:99], a[182:183], v[222:223], v[96:99]// 000000008EF4: D3F30060 0D83BDB6
	v_mfma_f32_16x16x32_fp8_fp8 v[96:99], a[184:185], v[224:225], v[96:99]// 000000008EFC: D3F30060 0D83C1B8
	buffer_load_dwordx4 a[68:71], v38, s[24:27], 0 offen offset:1024// 000000008F04: E05C1400 80864426
	v_mfma_f32_16x16x32_fp8_fp8 v[96:99], a[186:187], v[226:227], v[96:99]// 000000008F0C: D3F30060 0D83C5BA
	v_mfma_f32_16x16x32_fp8_fp8 v[96:99], a[188:189], v[228:229], v[96:99]// 000000008F14: D3F30060 0D83C9BC
	v_mfma_f32_16x16x32_fp8_fp8 v[96:99], a[190:191], v[230:231], v[96:99]// 000000008F1C: D3F30060 0D83CDBE
	v_mfma_f32_16x16x32_fp8_fp8 v[100:103], a[176:177], v[232:233], v[100:103]// 000000008F24: D3F30064 0D93D1B0
	buffer_load_dwordx4 a[72:75], v38, s[24:27], 0 offen offset:2048// 000000008F2C: E05C1800 80864826
	v_mfma_f32_16x16x32_fp8_fp8 v[100:103], a[178:179], v[234:235], v[100:103]// 000000008F34: D3F30064 0D93D5B2
	v_mfma_f32_16x16x32_fp8_fp8 v[100:103], a[180:181], v[236:237], v[100:103]// 000000008F3C: D3F30064 0D93D9B4
	v_mfma_f32_16x16x32_fp8_fp8 v[100:103], a[182:183], v[238:239], v[100:103]// 000000008F44: D3F30064 0D93DDB6
	v_mfma_f32_16x16x32_fp8_fp8 v[100:103], a[184:185], v[240:241], v[100:103]// 000000008F4C: D3F30064 0D93E1B8
	buffer_load_dwordx4 a[76:79], v38, s[24:27], 0 offen offset:3072// 000000008F54: E05C1C00 80864C26
	v_mfma_f32_16x16x32_fp8_fp8 v[100:103], a[186:187], v[242:243], v[100:103]// 000000008F5C: D3F30064 0D93E5BA
	v_mfma_f32_16x16x32_fp8_fp8 v[100:103], a[188:189], v[244:245], v[100:103]// 000000008F64: D3F30064 0D93E9BC
	v_mfma_f32_16x16x32_fp8_fp8 v[100:103], a[190:191], v[246:247], v[100:103]// 000000008F6C: D3F30064 0D93EDBE
	s_waitcnt vmcnt(24)                                        // 000000008F74: BF8C4F78
	v_mfma_f32_16x16x32_fp8_fp8 v[104:107], a[192:193], v[216:217], v[104:107]// 000000008F78: D3F30068 0DA3B1C0
	buffer_load_dwordx4 a[80:83], v39, s[24:27], 0 offen       // 000000008F80: E05C1000 80865027
	v_mfma_f32_16x16x32_fp8_fp8 v[104:107], a[194:195], v[218:219], v[104:107]// 000000008F88: D3F30068 0DA3B5C2
	v_mfma_f32_16x16x32_fp8_fp8 v[104:107], a[196:197], v[220:221], v[104:107]// 000000008F90: D3F30068 0DA3B9C4
	v_mfma_f32_16x16x32_fp8_fp8 v[104:107], a[198:199], v[222:223], v[104:107]// 000000008F98: D3F30068 0DA3BDC6
	v_mfma_f32_16x16x32_fp8_fp8 v[104:107], a[200:201], v[224:225], v[104:107]// 000000008FA0: D3F30068 0DA3C1C8
	buffer_load_dwordx4 a[84:87], v39, s[24:27], 0 offen offset:1024// 000000008FA8: E05C1400 80865427
	v_mfma_f32_16x16x32_fp8_fp8 v[104:107], a[202:203], v[226:227], v[104:107]// 000000008FB0: D3F30068 0DA3C5CA
	v_mfma_f32_16x16x32_fp8_fp8 v[104:107], a[204:205], v[228:229], v[104:107]// 000000008FB8: D3F30068 0DA3C9CC
	v_mfma_f32_16x16x32_fp8_fp8 v[104:107], a[206:207], v[230:231], v[104:107]// 000000008FC0: D3F30068 0DA3CDCE
	v_mfma_f32_16x16x32_fp8_fp8 v[108:111], a[192:193], v[232:233], v[108:111]// 000000008FC8: D3F3006C 0DB3D1C0
	buffer_load_dwordx4 a[88:91], v39, s[24:27], 0 offen offset:2048// 000000008FD0: E05C1800 80865827
	v_mfma_f32_16x16x32_fp8_fp8 v[108:111], a[194:195], v[234:235], v[108:111]// 000000008FD8: D3F3006C 0DB3D5C2
	v_mfma_f32_16x16x32_fp8_fp8 v[108:111], a[196:197], v[236:237], v[108:111]// 000000008FE0: D3F3006C 0DB3D9C4
	v_mfma_f32_16x16x32_fp8_fp8 v[108:111], a[198:199], v[238:239], v[108:111]// 000000008FE8: D3F3006C 0DB3DDC6
	v_mfma_f32_16x16x32_fp8_fp8 v[108:111], a[200:201], v[240:241], v[108:111]// 000000008FF0: D3F3006C 0DB3E1C8
	buffer_load_dwordx4 a[92:95], v39, s[24:27], 0 offen offset:3072// 000000008FF8: E05C1C00 80865C27
	v_mfma_f32_16x16x32_fp8_fp8 v[108:111], a[202:203], v[242:243], v[108:111]// 000000009000: D3F3006C 0DB3E5CA
	v_mfma_f32_16x16x32_fp8_fp8 v[108:111], a[204:205], v[244:245], v[108:111]// 000000009008: D3F3006C 0DB3E9CC
	v_mfma_f32_16x16x32_fp8_fp8 v[108:111], a[206:207], v[246:247], v[108:111]// 000000009010: D3F3006C 0DB3EDCE
	s_waitcnt vmcnt(24)                                        // 000000009018: BF8C4F78
	v_mfma_f32_16x16x32_fp8_fp8 v[112:115], a[208:209], v[216:217], v[112:115]// 00000000901C: D3F30070 0DC3B1D0
	buffer_load_dwordx4 a[96:99], v40, s[24:27], 0 offen       // 000000009024: E05C1000 80866028
	v_mfma_f32_16x16x32_fp8_fp8 v[112:115], a[210:211], v[218:219], v[112:115]// 00000000902C: D3F30070 0DC3B5D2
	v_mfma_f32_16x16x32_fp8_fp8 v[112:115], a[212:213], v[220:221], v[112:115]// 000000009034: D3F30070 0DC3B9D4
	v_mfma_f32_16x16x32_fp8_fp8 v[112:115], a[214:215], v[222:223], v[112:115]// 00000000903C: D3F30070 0DC3BDD6
	v_mfma_f32_16x16x32_fp8_fp8 v[112:115], a[216:217], v[224:225], v[112:115]// 000000009044: D3F30070 0DC3C1D8
	buffer_load_dwordx4 a[100:103], v40, s[24:27], 0 offen offset:1024// 00000000904C: E05C1400 80866428
	v_mfma_f32_16x16x32_fp8_fp8 v[112:115], a[218:219], v[226:227], v[112:115]// 000000009054: D3F30070 0DC3C5DA
	v_mfma_f32_16x16x32_fp8_fp8 v[112:115], a[220:221], v[228:229], v[112:115]// 00000000905C: D3F30070 0DC3C9DC
	v_mfma_f32_16x16x32_fp8_fp8 v[112:115], a[222:223], v[230:231], v[112:115]// 000000009064: D3F30070 0DC3CDDE
	v_mfma_f32_16x16x32_fp8_fp8 v[116:119], a[208:209], v[232:233], v[116:119]// 00000000906C: D3F30074 0DD3D1D0
	buffer_load_dwordx4 a[104:107], v40, s[24:27], 0 offen offset:2048// 000000009074: E05C1800 80866828
	v_mfma_f32_16x16x32_fp8_fp8 v[116:119], a[210:211], v[234:235], v[116:119]// 00000000907C: D3F30074 0DD3D5D2
	v_mfma_f32_16x16x32_fp8_fp8 v[116:119], a[212:213], v[236:237], v[116:119]// 000000009084: D3F30074 0DD3D9D4
	v_mfma_f32_16x16x32_fp8_fp8 v[116:119], a[214:215], v[238:239], v[116:119]// 00000000908C: D3F30074 0DD3DDD6
	v_mfma_f32_16x16x32_fp8_fp8 v[116:119], a[216:217], v[240:241], v[116:119]// 000000009094: D3F30074 0DD3E1D8
	buffer_load_dwordx4 a[108:111], v40, s[24:27], 0 offen offset:3072// 00000000909C: E05C1C00 80866C28
	v_mfma_f32_16x16x32_fp8_fp8 v[116:119], a[218:219], v[242:243], v[116:119]// 0000000090A4: D3F30074 0DD3E5DA
	v_mfma_f32_16x16x32_fp8_fp8 v[116:119], a[220:221], v[244:245], v[116:119]// 0000000090AC: D3F30074 0DD3E9DC
	v_mfma_f32_16x16x32_fp8_fp8 v[116:119], a[222:223], v[246:247], v[116:119]// 0000000090B4: D3F30074 0DD3EDDE
	s_add_u32 s60, 0x200, s80                                  // 0000000090BC: 803C50FF 00000200
	s_cmp_lt_u32 s60, s81                                      // 0000000090C4: BF0A513C
	s_cselect_b32 s57, s57, 0                                  // 0000000090C8: 85398039
	s_add_u32 s60, 0x200, s80                                  // 0000000090CC: 803C50FF 00000200
	s_cmp_lt_u32 s60, s81                                      // 0000000090D4: BF0A513C
	s_cselect_b32 s58, s58, 0                                  // 0000000090D8: 853A803A
	s_add_u32 s20, s57, s20                                    // 0000000090DC: 80141439
	s_addc_u32 s21, 0, s21                                     // 0000000090E0: 82151580
	s_add_u32 s24, s58, s24                                    // 0000000090E4: 8018183A
	s_addc_u32 s25, 0, s25                                     // 0000000090E8: 82191980
	s_add_u32 s92, s90, s92                                    // 0000000090EC: 805C5C5A
	s_addc_u32 s93, 0, s93                                     // 0000000090F0: 825D5D80
	s_addk_i32 s80, 0x100                                      // 0000000090F4: B7500100
	s_cmp_lt_i32 s80, s81                                      // 0000000090F8: BF045150
	s_cbranch_scc0 label_18C1                                  // 0000000090FC: BF840001
	s_branch label_13C4                                        // 000000009100: BF82FB03

0000000000009104 <label_18C1>:
	s_mov_b32 s20, 0                                           // 000000009104: BE940080
	s_cmp_lt_u32 s89, s66                                      // 000000009108: BF0A4259
	s_cselect_b32 s60, 0, 1                                    // 00000000910C: 853C8180
	s_lshl1_add_u32 s20, s20, s60                              // 000000009110: 97143C14
	s_cmp_lt_u32 s88, s66                                      // 000000009114: BF0A4258
	s_cselect_b32 s60, 0, 1                                    // 000000009118: 853C8180
	s_lshl1_add_u32 s20, s20, s60                              // 00000000911C: 97143C14
	s_cmp_lt_u32 s87, s66                                      // 000000009120: BF0A4257
	s_cselect_b32 s60, 0, 1                                    // 000000009124: 853C8180
	s_lshl1_add_u32 s20, s20, s60                              // 000000009128: 97143C14
	s_cmp_lt_u32 s86, s66                                      // 00000000912C: BF0A4256
	s_cselect_b32 s60, 0, 1                                    // 000000009130: 853C8180
	s_lshl1_add_u32 s20, s20, s60                              // 000000009134: 97143C14
	s_cmp_lt_u32 s85, s66                                      // 000000009138: BF0A4255
	s_cselect_b32 s60, 0, 1                                    // 00000000913C: 853C8180
	s_lshl1_add_u32 s20, s20, s60                              // 000000009140: 97143C14
	s_cmp_lt_u32 s84, s66                                      // 000000009144: BF0A4254
	s_cselect_b32 s60, 0, 1                                    // 000000009148: 853C8180
	s_lshl1_add_u32 s20, s20, s60                              // 00000000914C: 97143C14
	s_cmp_lt_u32 s83, s66                                      // 000000009150: BF0A4253
	s_cselect_b32 s60, 0, 1                                    // 000000009154: 853C8180
	s_lshl1_add_u32 s20, s20, s60                              // 000000009158: 97143C14
	s_cmp_lt_u32 s82, s66                                      // 00000000915C: BF0A4252
	s_cselect_b32 s60, 0, 1                                    // 000000009160: 853C8180
	s_lshl1_add_u32 s20, s20, s60                              // 000000009164: 97143C14
	v_mul_f32_e32 v128, v14, v128                              // 000000009168: 0B01010E
	v_mul_f32_e32 v129, v14, v129                              // 00000000916C: 0B03030E
	v_mul_f32_e32 v130, v14, v130                              // 000000009170: 0B05050E
	v_mul_f32_e32 v131, v14, v131                              // 000000009174: 0B07070E
	v_mul_f32_dpp v128, v16, v128 row_newbcast:0 row_mask:0xf bank_mask:0xf// 000000009178: 0B0100FA FF015010
	v_mul_f32_dpp v129, v16, v129 row_newbcast:1 row_mask:0xf bank_mask:0xf// 000000009180: 0B0302FA FF015110
	v_mul_f32_dpp v130, v16, v130 row_newbcast:2 row_mask:0xf bank_mask:0xf// 000000009188: 0B0504FA FF015210
	v_mul_f32_dpp v131, v16, v131 row_newbcast:3 row_mask:0xf bank_mask:0xf// 000000009190: 0B0706FA FF015310
	v_mul_f32_e32 v132, v15, v132                              // 000000009198: 0B09090F
	v_mul_f32_e32 v133, v15, v133                              // 00000000919C: 0B0B0B0F
	v_mul_f32_e32 v134, v15, v134                              // 0000000091A0: 0B0D0D0F
	v_mul_f32_e32 v135, v15, v135                              // 0000000091A4: 0B0F0F0F
	v_mul_f32_dpp v132, v16, v132 row_newbcast:0 row_mask:0xf bank_mask:0xf// 0000000091A8: 0B0908FA FF015010
	v_mul_f32_dpp v133, v16, v133 row_newbcast:1 row_mask:0xf bank_mask:0xf// 0000000091B0: 0B0B0AFA FF015110
	v_mul_f32_dpp v134, v16, v134 row_newbcast:2 row_mask:0xf bank_mask:0xf// 0000000091B8: 0B0D0CFA FF015210
	v_mul_f32_dpp v135, v16, v135 row_newbcast:3 row_mask:0xf bank_mask:0xf// 0000000091C0: 0B0F0EFA FF015310
	v_mul_f32_e32 v136, v14, v136                              // 0000000091C8: 0B11110E
	v_mul_f32_e32 v137, v14, v137                              // 0000000091CC: 0B13130E
	v_mul_f32_e32 v138, v14, v138                              // 0000000091D0: 0B15150E
	v_mul_f32_e32 v139, v14, v139                              // 0000000091D4: 0B17170E
	v_mul_f32_dpp v136, v16, v136 row_newbcast:4 row_mask:0xf bank_mask:0xf// 0000000091D8: 0B1110FA FF015410
	v_mul_f32_dpp v137, v16, v137 row_newbcast:5 row_mask:0xf bank_mask:0xf// 0000000091E0: 0B1312FA FF015510
	v_mul_f32_dpp v138, v16, v138 row_newbcast:6 row_mask:0xf bank_mask:0xf// 0000000091E8: 0B1514FA FF015610
	v_mul_f32_dpp v139, v16, v139 row_newbcast:7 row_mask:0xf bank_mask:0xf// 0000000091F0: 0B1716FA FF015710
	v_mul_f32_e32 v140, v15, v140                              // 0000000091F8: 0B19190F
	v_mul_f32_e32 v141, v15, v141                              // 0000000091FC: 0B1B1B0F
	v_mul_f32_e32 v142, v15, v142                              // 000000009200: 0B1D1D0F
	v_mul_f32_e32 v143, v15, v143                              // 000000009204: 0B1F1F0F
	v_mul_f32_dpp v140, v16, v140 row_newbcast:4 row_mask:0xf bank_mask:0xf// 000000009208: 0B1918FA FF015410
	v_mul_f32_dpp v141, v16, v141 row_newbcast:5 row_mask:0xf bank_mask:0xf// 000000009210: 0B1B1AFA FF015510
	v_mul_f32_dpp v142, v16, v142 row_newbcast:6 row_mask:0xf bank_mask:0xf// 000000009218: 0B1D1CFA FF015610
	v_mul_f32_dpp v143, v16, v143 row_newbcast:7 row_mask:0xf bank_mask:0xf// 000000009220: 0B1F1EFA FF015710
	v_mul_f32_e32 v144, v14, v144                              // 000000009228: 0B21210E
	v_mul_f32_e32 v145, v14, v145                              // 00000000922C: 0B23230E
	v_mul_f32_e32 v146, v14, v146                              // 000000009230: 0B25250E
	v_mul_f32_e32 v147, v14, v147                              // 000000009234: 0B27270E
	v_mul_f32_dpp v144, v16, v144 row_newbcast:8 row_mask:0xf bank_mask:0xf// 000000009238: 0B2120FA FF015810
	v_mul_f32_dpp v145, v16, v145 row_newbcast:9 row_mask:0xf bank_mask:0xf// 000000009240: 0B2322FA FF015910
	v_mul_f32_dpp v146, v16, v146 row_newbcast:10 row_mask:0xf bank_mask:0xf// 000000009248: 0B2524FA FF015A10
	v_mul_f32_dpp v147, v16, v147 row_newbcast:11 row_mask:0xf bank_mask:0xf// 000000009250: 0B2726FA FF015B10
	v_mul_f32_e32 v148, v15, v148                              // 000000009258: 0B29290F
	v_mul_f32_e32 v149, v15, v149                              // 00000000925C: 0B2B2B0F
	v_mul_f32_e32 v150, v15, v150                              // 000000009260: 0B2D2D0F
	v_mul_f32_e32 v151, v15, v151                              // 000000009264: 0B2F2F0F
	v_mul_f32_dpp v148, v16, v148 row_newbcast:8 row_mask:0xf bank_mask:0xf// 000000009268: 0B2928FA FF015810
	v_mul_f32_dpp v149, v16, v149 row_newbcast:9 row_mask:0xf bank_mask:0xf// 000000009270: 0B2B2AFA FF015910
	v_mul_f32_dpp v150, v16, v150 row_newbcast:10 row_mask:0xf bank_mask:0xf// 000000009278: 0B2D2CFA FF015A10
	v_mul_f32_dpp v151, v16, v151 row_newbcast:11 row_mask:0xf bank_mask:0xf// 000000009280: 0B2F2EFA FF015B10
	v_mul_f32_e32 v152, v14, v152                              // 000000009288: 0B31310E
	v_mul_f32_e32 v153, v14, v153                              // 00000000928C: 0B33330E
	v_mul_f32_e32 v154, v14, v154                              // 000000009290: 0B35350E
	v_mul_f32_e32 v155, v14, v155                              // 000000009294: 0B37370E
	v_mul_f32_dpp v152, v16, v152 row_newbcast:12 row_mask:0xf bank_mask:0xf// 000000009298: 0B3130FA FF015C10
	v_mul_f32_dpp v153, v16, v153 row_newbcast:13 row_mask:0xf bank_mask:0xf// 0000000092A0: 0B3332FA FF015D10
	v_mul_f32_dpp v154, v16, v154 row_newbcast:14 row_mask:0xf bank_mask:0xf// 0000000092A8: 0B3534FA FF015E10
	v_mul_f32_dpp v155, v16, v155 row_newbcast:15 row_mask:0xf bank_mask:0xf// 0000000092B0: 0B3736FA FF015F10
	v_mul_f32_e32 v156, v15, v156                              // 0000000092B8: 0B39390F
	v_mul_f32_e32 v157, v15, v157                              // 0000000092BC: 0B3B3B0F
	v_mul_f32_e32 v158, v15, v158                              // 0000000092C0: 0B3D3D0F
	v_mul_f32_e32 v159, v15, v159                              // 0000000092C4: 0B3F3F0F
	v_mul_f32_dpp v156, v16, v156 row_newbcast:12 row_mask:0xf bank_mask:0xf// 0000000092C8: 0B3938FA FF015C10
	v_mul_f32_dpp v157, v16, v157 row_newbcast:13 row_mask:0xf bank_mask:0xf// 0000000092D0: 0B3B3AFA FF015D10
	v_mul_f32_dpp v158, v16, v158 row_newbcast:14 row_mask:0xf bank_mask:0xf// 0000000092D8: 0B3D3CFA FF015E10
	v_mul_f32_dpp v159, v16, v159 row_newbcast:15 row_mask:0xf bank_mask:0xf// 0000000092E0: 0B3F3EFA FF015F10
	v_mul_f32_e32 v160, v14, v160                              // 0000000092E8: 0B41410E
	v_mul_f32_e32 v161, v14, v161                              // 0000000092EC: 0B43430E
	v_mul_f32_e32 v162, v14, v162                              // 0000000092F0: 0B45450E
	v_mul_f32_e32 v163, v14, v163                              // 0000000092F4: 0B47470E
	v_mul_f32_dpp v160, v17, v160 row_newbcast:0 row_mask:0xf bank_mask:0xf// 0000000092F8: 0B4140FA FF015011
	v_mul_f32_dpp v161, v17, v161 row_newbcast:1 row_mask:0xf bank_mask:0xf// 000000009300: 0B4342FA FF015111
	v_mul_f32_dpp v162, v17, v162 row_newbcast:2 row_mask:0xf bank_mask:0xf// 000000009308: 0B4544FA FF015211
	v_mul_f32_dpp v163, v17, v163 row_newbcast:3 row_mask:0xf bank_mask:0xf// 000000009310: 0B4746FA FF015311
	v_mul_f32_e32 v164, v15, v164                              // 000000009318: 0B49490F
	v_mul_f32_e32 v165, v15, v165                              // 00000000931C: 0B4B4B0F
	v_mul_f32_e32 v166, v15, v166                              // 000000009320: 0B4D4D0F
	v_mul_f32_e32 v167, v15, v167                              // 000000009324: 0B4F4F0F
	v_mul_f32_dpp v164, v17, v164 row_newbcast:0 row_mask:0xf bank_mask:0xf// 000000009328: 0B4948FA FF015011
	v_mul_f32_dpp v165, v17, v165 row_newbcast:1 row_mask:0xf bank_mask:0xf// 000000009330: 0B4B4AFA FF015111
	v_mul_f32_dpp v166, v17, v166 row_newbcast:2 row_mask:0xf bank_mask:0xf// 000000009338: 0B4D4CFA FF015211
	v_mul_f32_dpp v167, v17, v167 row_newbcast:3 row_mask:0xf bank_mask:0xf// 000000009340: 0B4F4EFA FF015311
	v_mul_f32_e32 v168, v14, v168                              // 000000009348: 0B51510E
	v_mul_f32_e32 v169, v14, v169                              // 00000000934C: 0B53530E
	v_mul_f32_e32 v170, v14, v170                              // 000000009350: 0B55550E
	v_mul_f32_e32 v171, v14, v171                              // 000000009354: 0B57570E
	v_mul_f32_dpp v168, v17, v168 row_newbcast:4 row_mask:0xf bank_mask:0xf// 000000009358: 0B5150FA FF015411
	v_mul_f32_dpp v169, v17, v169 row_newbcast:5 row_mask:0xf bank_mask:0xf// 000000009360: 0B5352FA FF015511
	v_mul_f32_dpp v170, v17, v170 row_newbcast:6 row_mask:0xf bank_mask:0xf// 000000009368: 0B5554FA FF015611
	v_mul_f32_dpp v171, v17, v171 row_newbcast:7 row_mask:0xf bank_mask:0xf// 000000009370: 0B5756FA FF015711
	v_mul_f32_e32 v172, v15, v172                              // 000000009378: 0B59590F
	v_mul_f32_e32 v173, v15, v173                              // 00000000937C: 0B5B5B0F
	v_mul_f32_e32 v174, v15, v174                              // 000000009380: 0B5D5D0F
	v_mul_f32_e32 v175, v15, v175                              // 000000009384: 0B5F5F0F
	v_mul_f32_dpp v172, v17, v172 row_newbcast:4 row_mask:0xf bank_mask:0xf// 000000009388: 0B5958FA FF015411
	v_mul_f32_dpp v173, v17, v173 row_newbcast:5 row_mask:0xf bank_mask:0xf// 000000009390: 0B5B5AFA FF015511
	v_mul_f32_dpp v174, v17, v174 row_newbcast:6 row_mask:0xf bank_mask:0xf// 000000009398: 0B5D5CFA FF015611
	v_mul_f32_dpp v175, v17, v175 row_newbcast:7 row_mask:0xf bank_mask:0xf// 0000000093A0: 0B5F5EFA FF015711
	v_mul_f32_e32 v176, v14, v176                              // 0000000093A8: 0B61610E
	v_mul_f32_e32 v177, v14, v177                              // 0000000093AC: 0B63630E
	v_mul_f32_e32 v178, v14, v178                              // 0000000093B0: 0B65650E
	v_mul_f32_e32 v179, v14, v179                              // 0000000093B4: 0B67670E
	v_mul_f32_dpp v176, v17, v176 row_newbcast:8 row_mask:0xf bank_mask:0xf// 0000000093B8: 0B6160FA FF015811
	v_mul_f32_dpp v177, v17, v177 row_newbcast:9 row_mask:0xf bank_mask:0xf// 0000000093C0: 0B6362FA FF015911
	v_mul_f32_dpp v178, v17, v178 row_newbcast:10 row_mask:0xf bank_mask:0xf// 0000000093C8: 0B6564FA FF015A11
	v_mul_f32_dpp v179, v17, v179 row_newbcast:11 row_mask:0xf bank_mask:0xf// 0000000093D0: 0B6766FA FF015B11
	v_mul_f32_e32 v180, v15, v180                              // 0000000093D8: 0B69690F
	v_mul_f32_e32 v181, v15, v181                              // 0000000093DC: 0B6B6B0F
	v_mul_f32_e32 v182, v15, v182                              // 0000000093E0: 0B6D6D0F
	v_mul_f32_e32 v183, v15, v183                              // 0000000093E4: 0B6F6F0F
	v_mul_f32_dpp v180, v17, v180 row_newbcast:8 row_mask:0xf bank_mask:0xf// 0000000093E8: 0B6968FA FF015811
	v_mul_f32_dpp v181, v17, v181 row_newbcast:9 row_mask:0xf bank_mask:0xf// 0000000093F0: 0B6B6AFA FF015911
	v_mul_f32_dpp v182, v17, v182 row_newbcast:10 row_mask:0xf bank_mask:0xf// 0000000093F8: 0B6D6CFA FF015A11
	v_mul_f32_dpp v183, v17, v183 row_newbcast:11 row_mask:0xf bank_mask:0xf// 000000009400: 0B6F6EFA FF015B11
	v_mul_f32_e32 v64, v14, v64                                // 000000009408: 0A80810E
	v_mul_f32_e32 v65, v14, v65                                // 00000000940C: 0A82830E
	v_mul_f32_e32 v66, v14, v66                                // 000000009410: 0A84850E
	v_mul_f32_e32 v67, v14, v67                                // 000000009414: 0A86870E
	v_mul_f32_dpp v64, v49, v64 row_newbcast:0 row_mask:0xf bank_mask:0xf// 000000009418: 0A8080FA FF015031
	v_mul_f32_dpp v65, v49, v65 row_newbcast:1 row_mask:0xf bank_mask:0xf// 000000009420: 0A8282FA FF015131
	v_mul_f32_dpp v66, v49, v66 row_newbcast:2 row_mask:0xf bank_mask:0xf// 000000009428: 0A8484FA FF015231
	v_mul_f32_dpp v67, v49, v67 row_newbcast:3 row_mask:0xf bank_mask:0xf// 000000009430: 0A8686FA FF015331
	v_mul_f32_e32 v68, v15, v68                                // 000000009438: 0A88890F
	v_mul_f32_e32 v69, v15, v69                                // 00000000943C: 0A8A8B0F
	v_mul_f32_e32 v70, v15, v70                                // 000000009440: 0A8C8D0F
	v_mul_f32_e32 v71, v15, v71                                // 000000009444: 0A8E8F0F
	v_mul_f32_dpp v68, v49, v68 row_newbcast:0 row_mask:0xf bank_mask:0xf// 000000009448: 0A8888FA FF015031
	v_mul_f32_dpp v69, v49, v69 row_newbcast:1 row_mask:0xf bank_mask:0xf// 000000009450: 0A8A8AFA FF015131
	v_mul_f32_dpp v70, v49, v70 row_newbcast:2 row_mask:0xf bank_mask:0xf// 000000009458: 0A8C8CFA FF015231
	v_mul_f32_dpp v71, v49, v71 row_newbcast:3 row_mask:0xf bank_mask:0xf// 000000009460: 0A8E8EFA FF015331
	v_mul_f32_e32 v72, v14, v72                                // 000000009468: 0A90910E
	v_mul_f32_e32 v73, v14, v73                                // 00000000946C: 0A92930E
	v_mul_f32_e32 v74, v14, v74                                // 000000009470: 0A94950E
	v_mul_f32_e32 v75, v14, v75                                // 000000009474: 0A96970E
	v_mul_f32_dpp v72, v49, v72 row_newbcast:4 row_mask:0xf bank_mask:0xf// 000000009478: 0A9090FA FF015431
	v_mul_f32_dpp v73, v49, v73 row_newbcast:5 row_mask:0xf bank_mask:0xf// 000000009480: 0A9292FA FF015531
	v_mul_f32_dpp v74, v49, v74 row_newbcast:6 row_mask:0xf bank_mask:0xf// 000000009488: 0A9494FA FF015631
	v_mul_f32_dpp v75, v49, v75 row_newbcast:7 row_mask:0xf bank_mask:0xf// 000000009490: 0A9696FA FF015731
	v_mul_f32_e32 v76, v15, v76                                // 000000009498: 0A98990F
	v_mul_f32_e32 v77, v15, v77                                // 00000000949C: 0A9A9B0F
	v_mul_f32_e32 v78, v15, v78                                // 0000000094A0: 0A9C9D0F
	v_mul_f32_e32 v79, v15, v79                                // 0000000094A4: 0A9E9F0F
	v_mul_f32_dpp v76, v49, v76 row_newbcast:4 row_mask:0xf bank_mask:0xf// 0000000094A8: 0A9898FA FF015431
	v_mul_f32_dpp v77, v49, v77 row_newbcast:5 row_mask:0xf bank_mask:0xf// 0000000094B0: 0A9A9AFA FF015531
	v_mul_f32_dpp v78, v49, v78 row_newbcast:6 row_mask:0xf bank_mask:0xf// 0000000094B8: 0A9C9CFA FF015631
	v_mul_f32_dpp v79, v49, v79 row_newbcast:7 row_mask:0xf bank_mask:0xf// 0000000094C0: 0A9E9EFA FF015731
	v_mul_f32_e32 v80, v14, v80                                // 0000000094C8: 0AA0A10E
	v_mul_f32_e32 v81, v14, v81                                // 0000000094CC: 0AA2A30E
	v_mul_f32_e32 v82, v14, v82                                // 0000000094D0: 0AA4A50E
	v_mul_f32_e32 v83, v14, v83                                // 0000000094D4: 0AA6A70E
	v_mul_f32_dpp v80, v49, v80 row_newbcast:8 row_mask:0xf bank_mask:0xf// 0000000094D8: 0AA0A0FA FF015831
	v_mul_f32_dpp v81, v49, v81 row_newbcast:9 row_mask:0xf bank_mask:0xf// 0000000094E0: 0AA2A2FA FF015931
	v_mul_f32_dpp v82, v49, v82 row_newbcast:10 row_mask:0xf bank_mask:0xf// 0000000094E8: 0AA4A4FA FF015A31
	v_mul_f32_dpp v83, v49, v83 row_newbcast:11 row_mask:0xf bank_mask:0xf// 0000000094F0: 0AA6A6FA FF015B31
	v_mul_f32_e32 v84, v15, v84                                // 0000000094F8: 0AA8A90F
	v_mul_f32_e32 v85, v15, v85                                // 0000000094FC: 0AAAAB0F
	v_mul_f32_e32 v86, v15, v86                                // 000000009500: 0AACAD0F
	v_mul_f32_e32 v87, v15, v87                                // 000000009504: 0AAEAF0F
	v_mul_f32_dpp v84, v49, v84 row_newbcast:8 row_mask:0xf bank_mask:0xf// 000000009508: 0AA8A8FA FF015831
	v_mul_f32_dpp v85, v49, v85 row_newbcast:9 row_mask:0xf bank_mask:0xf// 000000009510: 0AAAAAFA FF015931
	v_mul_f32_dpp v86, v49, v86 row_newbcast:10 row_mask:0xf bank_mask:0xf// 000000009518: 0AACACFA FF015A31
	v_mul_f32_dpp v87, v49, v87 row_newbcast:11 row_mask:0xf bank_mask:0xf// 000000009520: 0AAEAEFA FF015B31
	v_mul_f32_e32 v88, v14, v88                                // 000000009528: 0AB0B10E
	v_mul_f32_e32 v89, v14, v89                                // 00000000952C: 0AB2B30E
	v_mul_f32_e32 v90, v14, v90                                // 000000009530: 0AB4B50E
	v_mul_f32_e32 v91, v14, v91                                // 000000009534: 0AB6B70E
	v_mul_f32_dpp v88, v49, v88 row_newbcast:12 row_mask:0xf bank_mask:0xf// 000000009538: 0AB0B0FA FF015C31
	v_mul_f32_dpp v89, v49, v89 row_newbcast:13 row_mask:0xf bank_mask:0xf// 000000009540: 0AB2B2FA FF015D31
	v_mul_f32_dpp v90, v49, v90 row_newbcast:14 row_mask:0xf bank_mask:0xf// 000000009548: 0AB4B4FA FF015E31
	v_mul_f32_dpp v91, v49, v91 row_newbcast:15 row_mask:0xf bank_mask:0xf// 000000009550: 0AB6B6FA FF015F31
	v_mul_f32_e32 v92, v15, v92                                // 000000009558: 0AB8B90F
	v_mul_f32_e32 v93, v15, v93                                // 00000000955C: 0ABABB0F
	v_mul_f32_e32 v94, v15, v94                                // 000000009560: 0ABCBD0F
	v_mul_f32_e32 v95, v15, v95                                // 000000009564: 0ABEBF0F
	v_mul_f32_dpp v92, v49, v92 row_newbcast:12 row_mask:0xf bank_mask:0xf// 000000009568: 0AB8B8FA FF015C31
	v_mul_f32_dpp v93, v49, v93 row_newbcast:13 row_mask:0xf bank_mask:0xf// 000000009570: 0ABABAFA FF015D31
	v_mul_f32_dpp v94, v49, v94 row_newbcast:14 row_mask:0xf bank_mask:0xf// 000000009578: 0ABCBCFA FF015E31
	v_mul_f32_dpp v95, v49, v95 row_newbcast:15 row_mask:0xf bank_mask:0xf// 000000009580: 0ABEBEFA FF015F31
	v_mul_f32_e32 v96, v14, v96                                // 000000009588: 0AC0C10E
	v_mul_f32_e32 v97, v14, v97                                // 00000000958C: 0AC2C30E
	v_mul_f32_e32 v98, v14, v98                                // 000000009590: 0AC4C50E
	v_mul_f32_e32 v99, v14, v99                                // 000000009594: 0AC6C70E
	v_mul_f32_dpp v96, v50, v96 row_newbcast:0 row_mask:0xf bank_mask:0xf// 000000009598: 0AC0C0FA FF015032
	v_mul_f32_dpp v97, v50, v97 row_newbcast:1 row_mask:0xf bank_mask:0xf// 0000000095A0: 0AC2C2FA FF015132
	v_mul_f32_dpp v98, v50, v98 row_newbcast:2 row_mask:0xf bank_mask:0xf// 0000000095A8: 0AC4C4FA FF015232
	v_mul_f32_dpp v99, v50, v99 row_newbcast:3 row_mask:0xf bank_mask:0xf// 0000000095B0: 0AC6C6FA FF015332
	v_mul_f32_e32 v100, v15, v100                              // 0000000095B8: 0AC8C90F
	v_mul_f32_e32 v101, v15, v101                              // 0000000095BC: 0ACACB0F
	v_mul_f32_e32 v102, v15, v102                              // 0000000095C0: 0ACCCD0F
	v_mul_f32_e32 v103, v15, v103                              // 0000000095C4: 0ACECF0F
	v_mul_f32_dpp v100, v50, v100 row_newbcast:0 row_mask:0xf bank_mask:0xf// 0000000095C8: 0AC8C8FA FF015032
	v_mul_f32_dpp v101, v50, v101 row_newbcast:1 row_mask:0xf bank_mask:0xf// 0000000095D0: 0ACACAFA FF015132
	v_mul_f32_dpp v102, v50, v102 row_newbcast:2 row_mask:0xf bank_mask:0xf// 0000000095D8: 0ACCCCFA FF015232
	v_mul_f32_dpp v103, v50, v103 row_newbcast:3 row_mask:0xf bank_mask:0xf// 0000000095E0: 0ACECEFA FF015332
	v_mul_f32_e32 v104, v14, v104                              // 0000000095E8: 0AD0D10E
	v_mul_f32_e32 v105, v14, v105                              // 0000000095EC: 0AD2D30E
	v_mul_f32_e32 v106, v14, v106                              // 0000000095F0: 0AD4D50E
	v_mul_f32_e32 v107, v14, v107                              // 0000000095F4: 0AD6D70E
	v_mul_f32_dpp v104, v50, v104 row_newbcast:4 row_mask:0xf bank_mask:0xf// 0000000095F8: 0AD0D0FA FF015432
	v_mul_f32_dpp v105, v50, v105 row_newbcast:5 row_mask:0xf bank_mask:0xf// 000000009600: 0AD2D2FA FF015532
	v_mul_f32_dpp v106, v50, v106 row_newbcast:6 row_mask:0xf bank_mask:0xf// 000000009608: 0AD4D4FA FF015632
	v_mul_f32_dpp v107, v50, v107 row_newbcast:7 row_mask:0xf bank_mask:0xf// 000000009610: 0AD6D6FA FF015732
	v_mul_f32_e32 v108, v15, v108                              // 000000009618: 0AD8D90F
	v_mul_f32_e32 v109, v15, v109                              // 00000000961C: 0ADADB0F
	v_mul_f32_e32 v110, v15, v110                              // 000000009620: 0ADCDD0F
	v_mul_f32_e32 v111, v15, v111                              // 000000009624: 0ADEDF0F
	v_mul_f32_dpp v108, v50, v108 row_newbcast:4 row_mask:0xf bank_mask:0xf// 000000009628: 0AD8D8FA FF015432
	v_mul_f32_dpp v109, v50, v109 row_newbcast:5 row_mask:0xf bank_mask:0xf// 000000009630: 0ADADAFA FF015532
	v_mul_f32_dpp v110, v50, v110 row_newbcast:6 row_mask:0xf bank_mask:0xf// 000000009638: 0ADCDCFA FF015632
	v_mul_f32_dpp v111, v50, v111 row_newbcast:7 row_mask:0xf bank_mask:0xf// 000000009640: 0ADEDEFA FF015732
	v_mul_f32_e32 v112, v14, v112                              // 000000009648: 0AE0E10E
	v_mul_f32_e32 v113, v14, v113                              // 00000000964C: 0AE2E30E
	v_mul_f32_e32 v114, v14, v114                              // 000000009650: 0AE4E50E
	v_mul_f32_e32 v115, v14, v115                              // 000000009654: 0AE6E70E
	v_mul_f32_dpp v112, v50, v112 row_newbcast:8 row_mask:0xf bank_mask:0xf// 000000009658: 0AE0E0FA FF015832
	v_mul_f32_dpp v113, v50, v113 row_newbcast:9 row_mask:0xf bank_mask:0xf// 000000009660: 0AE2E2FA FF015932
	v_mul_f32_dpp v114, v50, v114 row_newbcast:10 row_mask:0xf bank_mask:0xf// 000000009668: 0AE4E4FA FF015A32
	v_mul_f32_dpp v115, v50, v115 row_newbcast:11 row_mask:0xf bank_mask:0xf// 000000009670: 0AE6E6FA FF015B32
	v_mul_f32_e32 v116, v15, v116                              // 000000009678: 0AE8E90F
	v_mul_f32_e32 v117, v15, v117                              // 00000000967C: 0AEAEB0F
	v_mul_f32_e32 v118, v15, v118                              // 000000009680: 0AECED0F
	v_mul_f32_e32 v119, v15, v119                              // 000000009684: 0AEEEF0F
	v_mul_f32_dpp v116, v50, v116 row_newbcast:8 row_mask:0xf bank_mask:0xf// 000000009688: 0AE8E8FA FF015832
	v_mul_f32_dpp v117, v50, v117 row_newbcast:9 row_mask:0xf bank_mask:0xf// 000000009690: 0AEAEAFA FF015932
	v_mul_f32_dpp v118, v50, v118 row_newbcast:10 row_mask:0xf bank_mask:0xf// 000000009698: 0AECECFA FF015A32
	v_mul_f32_dpp v119, v50, v119 row_newbcast:11 row_mask:0xf bank_mask:0xf// 0000000096A0: 0AEEEEFA FF015B32
	s_waitcnt vmcnt(24)                                        // 0000000096A8: BF8C4F78
	buffer_load_dwordx4 a[0:3], v41, s[12:15], 0 offen         // 0000000096AC: E05C1000 80830029
	v_mul_f32_e32 v52, v128, v128                              // 0000000096B4: 0A690180
	v_mul_f32_e32 v53, v129, v129                              // 0000000096B8: 0A6B0381
	v_mul_f32_e32 v54, v130, v130                              // 0000000096BC: 0A6D0582
	v_mul_f32_e32 v55, v131, v131                              // 0000000096C0: 0A6F0783
	v_fma_f32 v52, v52, s77, v1                                // 0000000096C4: D1CB0034 04049B34
	v_fma_f32 v53, v53, s77, v1                                // 0000000096CC: D1CB0035 04049B35
	v_fma_f32 v54, v54, s77, v1                                // 0000000096D4: D1CB0036 04049B36
	v_fma_f32 v55, v55, s77, v1                                // 0000000096DC: D1CB0037 04049B37
	v_mul_f32_e32 v52, v52, v128                               // 0000000096E4: 0A690134
	v_mul_f32_e32 v53, v53, v129                               // 0000000096E8: 0A6B0335
	v_mul_f32_e32 v54, v54, v130                               // 0000000096EC: 0A6D0536
	v_mul_f32_e32 v55, v55, v131                               // 0000000096F0: 0A6F0737
	v_mul_f32_e64 v52, v52, s6                                 // 0000000096F4: D1050034 00000D34
	v_mul_f32_e64 v53, v53, s6                                 // 0000000096FC: D1050035 00000D35
	v_mul_f32_e64 v54, v54, s6                                 // 000000009704: D1050036 00000D36
	v_mul_f32_e64 v55, v55, s6                                 // 00000000970C: D1050037 00000D37
	v_exp_f32_e32 v52, v52                                     // 000000009714: 7E684134
	v_exp_f32_e32 v53, v53                                     // 000000009718: 7E6A4135
	v_exp_f32_e32 v54, v54                                     // 00000000971C: 7E6C4136
	v_exp_f32_e32 v55, v55                                     // 000000009720: 7E6E4137
	buffer_load_dwordx4 a[4:7], v42, s[12:15], 0 offen         // 000000009724: E05C1000 8083042A
	v_add_f32_e64 v52, v52, 1.0                                // 00000000972C: D1010034 0001E534
	v_add_f32_e64 v53, v53, 1.0                                // 000000009734: D1010035 0001E535
	v_add_f32_e64 v54, v54, 1.0                                // 00000000973C: D1010036 0001E536
	v_add_f32_e64 v55, v55, 1.0                                // 000000009744: D1010037 0001E537
	v_rcp_f32_e32 v52, v52                                     // 00000000974C: 7E684534
	v_rcp_f32_e32 v53, v53                                     // 000000009750: 7E6A4535
	v_rcp_f32_e32 v54, v54                                     // 000000009754: 7E6C4536
	v_rcp_f32_e32 v55, v55                                     // 000000009758: 7E6E4537
	v_mul_f32_e32 v128, v128, v52                              // 00000000975C: 0B006980
	v_mul_f32_e32 v129, v129, v53                              // 000000009760: 0B026B81
	v_mul_f32_e32 v130, v130, v54                              // 000000009764: 0B046D82
	v_mul_f32_e32 v131, v131, v55                              // 000000009768: 0B066F83
	v_mul_f32_e32 v128, v128, v64                              // 00000000976C: 0B008180
	v_mul_f32_e32 v129, v129, v65                              // 000000009770: 0B028381
	v_mul_f32_e32 v130, v130, v66                              // 000000009774: 0B048582
	v_mul_f32_e32 v131, v131, v67                              // 000000009778: 0B068783
	buffer_load_dwordx4 a[8:11], v43, s[12:15], 0 offen        // 00000000977C: E05C1000 8083082B
	v_mul_f32_e32 v52, v132, v132                              // 000000009784: 0A690984
	v_mul_f32_e32 v53, v133, v133                              // 000000009788: 0A6B0B85
	v_mul_f32_e32 v54, v134, v134                              // 00000000978C: 0A6D0D86
	v_mul_f32_e32 v55, v135, v135                              // 000000009790: 0A6F0F87
	v_fma_f32 v52, v52, s77, v1                                // 000000009794: D1CB0034 04049B34
	v_fma_f32 v53, v53, s77, v1                                // 00000000979C: D1CB0035 04049B35
	v_fma_f32 v54, v54, s77, v1                                // 0000000097A4: D1CB0036 04049B36
	v_fma_f32 v55, v55, s77, v1                                // 0000000097AC: D1CB0037 04049B37
	v_mul_f32_e32 v52, v52, v132                               // 0000000097B4: 0A690934
	v_mul_f32_e32 v53, v53, v133                               // 0000000097B8: 0A6B0B35
	v_mul_f32_e32 v54, v54, v134                               // 0000000097BC: 0A6D0D36
	v_mul_f32_e32 v55, v55, v135                               // 0000000097C0: 0A6F0F37
	v_mul_f32_e64 v52, v52, s6                                 // 0000000097C4: D1050034 00000D34
	v_mul_f32_e64 v53, v53, s6                                 // 0000000097CC: D1050035 00000D35
	v_mul_f32_e64 v54, v54, s6                                 // 0000000097D4: D1050036 00000D36
	v_mul_f32_e64 v55, v55, s6                                 // 0000000097DC: D1050037 00000D37
	v_exp_f32_e32 v52, v52                                     // 0000000097E4: 7E684134
	v_exp_f32_e32 v53, v53                                     // 0000000097E8: 7E6A4135
	v_exp_f32_e32 v54, v54                                     // 0000000097EC: 7E6C4136
	v_exp_f32_e32 v55, v55                                     // 0000000097F0: 7E6E4137
	buffer_load_dwordx4 a[12:15], v44, s[12:15], 0 offen       // 0000000097F4: E05C1000 80830C2C
	s_add_u32 s12, s78, s12                                    // 0000000097FC: 800C0C4E
	s_addc_u32 s13, 0, s13                                     // 000000009800: 820D0D80
	v_add_f32_e64 v52, v52, 1.0                                // 000000009804: D1010034 0001E534
	v_add_f32_e64 v53, v53, 1.0                                // 00000000980C: D1010035 0001E535
	v_add_f32_e64 v54, v54, 1.0                                // 000000009814: D1010036 0001E536
	v_add_f32_e64 v55, v55, 1.0                                // 00000000981C: D1010037 0001E537
	v_rcp_f32_e32 v52, v52                                     // 000000009824: 7E684534
	v_rcp_f32_e32 v53, v53                                     // 000000009828: 7E6A4535
	v_rcp_f32_e32 v54, v54                                     // 00000000982C: 7E6C4536
	v_rcp_f32_e32 v55, v55                                     // 000000009830: 7E6E4537
	v_mul_f32_e32 v132, v132, v52                              // 000000009834: 0B086984
	v_mul_f32_e32 v133, v133, v53                              // 000000009838: 0B0A6B85
	v_mul_f32_e32 v134, v134, v54                              // 00000000983C: 0B0C6D86
	v_mul_f32_e32 v135, v135, v55                              // 000000009840: 0B0E6F87
	v_mul_f32_e32 v132, v132, v68                              // 000000009844: 0B088984
	v_mul_f32_e32 v133, v133, v69                              // 000000009848: 0B0A8B85
	v_mul_f32_e32 v134, v134, v70                              // 00000000984C: 0B0C8D86
	v_mul_f32_e32 v135, v135, v71                              // 000000009850: 0B0E8F87
	s_waitcnt vmcnt(24)                                        // 000000009854: BF8C4F78
	buffer_load_dwordx4 a[16:19], v41, s[12:15], 0 offen       // 000000009858: E05C1000 80831029
	v_mul_f32_e32 v52, v136, v136                              // 000000009860: 0A691188
	v_mul_f32_e32 v53, v137, v137                              // 000000009864: 0A6B1389
	v_mul_f32_e32 v54, v138, v138                              // 000000009868: 0A6D158A
	v_mul_f32_e32 v55, v139, v139                              // 00000000986C: 0A6F178B
	v_fma_f32 v52, v52, s77, v1                                // 000000009870: D1CB0034 04049B34
	v_fma_f32 v53, v53, s77, v1                                // 000000009878: D1CB0035 04049B35
	v_fma_f32 v54, v54, s77, v1                                // 000000009880: D1CB0036 04049B36
	v_fma_f32 v55, v55, s77, v1                                // 000000009888: D1CB0037 04049B37
	v_mul_f32_e32 v52, v52, v136                               // 000000009890: 0A691134
	v_mul_f32_e32 v53, v53, v137                               // 000000009894: 0A6B1335
	v_mul_f32_e32 v54, v54, v138                               // 000000009898: 0A6D1536
	v_mul_f32_e32 v55, v55, v139                               // 00000000989C: 0A6F1737
	v_mul_f32_e64 v52, v52, s6                                 // 0000000098A0: D1050034 00000D34
	v_mul_f32_e64 v53, v53, s6                                 // 0000000098A8: D1050035 00000D35
	v_mul_f32_e64 v54, v54, s6                                 // 0000000098B0: D1050036 00000D36
	v_mul_f32_e64 v55, v55, s6                                 // 0000000098B8: D1050037 00000D37
	v_exp_f32_e32 v52, v52                                     // 0000000098C0: 7E684134
	v_exp_f32_e32 v53, v53                                     // 0000000098C4: 7E6A4135
	v_exp_f32_e32 v54, v54                                     // 0000000098C8: 7E6C4136
	v_exp_f32_e32 v55, v55                                     // 0000000098CC: 7E6E4137
	buffer_load_dwordx4 a[20:23], v42, s[12:15], 0 offen       // 0000000098D0: E05C1000 8083142A
	v_add_f32_e64 v52, v52, 1.0                                // 0000000098D8: D1010034 0001E534
	v_add_f32_e64 v53, v53, 1.0                                // 0000000098E0: D1010035 0001E535
	v_add_f32_e64 v54, v54, 1.0                                // 0000000098E8: D1010036 0001E536
	v_add_f32_e64 v55, v55, 1.0                                // 0000000098F0: D1010037 0001E537
	v_rcp_f32_e32 v52, v52                                     // 0000000098F8: 7E684534
	v_rcp_f32_e32 v53, v53                                     // 0000000098FC: 7E6A4535
	v_rcp_f32_e32 v54, v54                                     // 000000009900: 7E6C4536
	v_rcp_f32_e32 v55, v55                                     // 000000009904: 7E6E4537
	v_mul_f32_e32 v136, v136, v52                              // 000000009908: 0B106988
	v_mul_f32_e32 v137, v137, v53                              // 00000000990C: 0B126B89
	v_mul_f32_e32 v138, v138, v54                              // 000000009910: 0B146D8A
	v_mul_f32_e32 v139, v139, v55                              // 000000009914: 0B166F8B
	v_mul_f32_e32 v136, v136, v72                              // 000000009918: 0B109188
	v_mul_f32_e32 v137, v137, v73                              // 00000000991C: 0B129389
	v_mul_f32_e32 v138, v138, v74                              // 000000009920: 0B14958A
	v_mul_f32_e32 v139, v139, v75                              // 000000009924: 0B16978B
	buffer_load_dwordx4 a[24:27], v43, s[12:15], 0 offen       // 000000009928: E05C1000 8083182B
	v_mul_f32_e32 v52, v140, v140                              // 000000009930: 0A69198C
	v_mul_f32_e32 v53, v141, v141                              // 000000009934: 0A6B1B8D
	v_mul_f32_e32 v54, v142, v142                              // 000000009938: 0A6D1D8E
	v_mul_f32_e32 v55, v143, v143                              // 00000000993C: 0A6F1F8F
	v_fma_f32 v52, v52, s77, v1                                // 000000009940: D1CB0034 04049B34
	v_fma_f32 v53, v53, s77, v1                                // 000000009948: D1CB0035 04049B35
	v_fma_f32 v54, v54, s77, v1                                // 000000009950: D1CB0036 04049B36
	v_fma_f32 v55, v55, s77, v1                                // 000000009958: D1CB0037 04049B37
	v_mul_f32_e32 v52, v52, v140                               // 000000009960: 0A691934
	v_mul_f32_e32 v53, v53, v141                               // 000000009964: 0A6B1B35
	v_mul_f32_e32 v54, v54, v142                               // 000000009968: 0A6D1D36
	v_mul_f32_e32 v55, v55, v143                               // 00000000996C: 0A6F1F37
	v_mul_f32_e64 v52, v52, s6                                 // 000000009970: D1050034 00000D34
	v_mul_f32_e64 v53, v53, s6                                 // 000000009978: D1050035 00000D35
	v_mul_f32_e64 v54, v54, s6                                 // 000000009980: D1050036 00000D36
	v_mul_f32_e64 v55, v55, s6                                 // 000000009988: D1050037 00000D37
	v_exp_f32_e32 v52, v52                                     // 000000009990: 7E684134
	v_exp_f32_e32 v53, v53                                     // 000000009994: 7E6A4135
	v_exp_f32_e32 v54, v54                                     // 000000009998: 7E6C4136
	v_exp_f32_e32 v55, v55                                     // 00000000999C: 7E6E4137
	buffer_load_dwordx4 a[28:31], v44, s[12:15], 0 offen       // 0000000099A0: E05C1000 80831C2C
	s_add_u32 s12, s78, s12                                    // 0000000099A8: 800C0C4E
	s_addc_u32 s13, 0, s13                                     // 0000000099AC: 820D0D80
	v_add_f32_e64 v52, v52, 1.0                                // 0000000099B0: D1010034 0001E534
	v_add_f32_e64 v53, v53, 1.0                                // 0000000099B8: D1010035 0001E535
	v_add_f32_e64 v54, v54, 1.0                                // 0000000099C0: D1010036 0001E536
	v_add_f32_e64 v55, v55, 1.0                                // 0000000099C8: D1010037 0001E537
	v_rcp_f32_e32 v52, v52                                     // 0000000099D0: 7E684534
	v_rcp_f32_e32 v53, v53                                     // 0000000099D4: 7E6A4535
	v_rcp_f32_e32 v54, v54                                     // 0000000099D8: 7E6C4536
	v_rcp_f32_e32 v55, v55                                     // 0000000099DC: 7E6E4537
	v_mul_f32_e32 v140, v140, v52                              // 0000000099E0: 0B18698C
	v_mul_f32_e32 v141, v141, v53                              // 0000000099E4: 0B1A6B8D
	v_mul_f32_e32 v142, v142, v54                              // 0000000099E8: 0B1C6D8E
	v_mul_f32_e32 v143, v143, v55                              // 0000000099EC: 0B1E6F8F
	v_mul_f32_e32 v140, v140, v76                              // 0000000099F0: 0B18998C
	v_mul_f32_e32 v141, v141, v77                              // 0000000099F4: 0B1A9B8D
	v_mul_f32_e32 v142, v142, v78                              // 0000000099F8: 0B1C9D8E
	v_mul_f32_e32 v143, v143, v79                              // 0000000099FC: 0B1E9F8F
	s_waitcnt vmcnt(24)                                        // 000000009A00: BF8C4F78
	buffer_load_dwordx4 a[32:35], v41, s[12:15], 0 offen       // 000000009A04: E05C1000 80832029
	v_mul_f32_e32 v52, v144, v144                              // 000000009A0C: 0A692190
	v_mul_f32_e32 v53, v145, v145                              // 000000009A10: 0A6B2391
	v_mul_f32_e32 v54, v146, v146                              // 000000009A14: 0A6D2592
	v_mul_f32_e32 v55, v147, v147                              // 000000009A18: 0A6F2793
	v_fma_f32 v52, v52, s77, v1                                // 000000009A1C: D1CB0034 04049B34
	v_fma_f32 v53, v53, s77, v1                                // 000000009A24: D1CB0035 04049B35
	v_fma_f32 v54, v54, s77, v1                                // 000000009A2C: D1CB0036 04049B36
	v_fma_f32 v55, v55, s77, v1                                // 000000009A34: D1CB0037 04049B37
	v_mul_f32_e32 v52, v52, v144                               // 000000009A3C: 0A692134
	v_mul_f32_e32 v53, v53, v145                               // 000000009A40: 0A6B2335
	v_mul_f32_e32 v54, v54, v146                               // 000000009A44: 0A6D2536
	v_mul_f32_e32 v55, v55, v147                               // 000000009A48: 0A6F2737
	v_mul_f32_e64 v52, v52, s6                                 // 000000009A4C: D1050034 00000D34
	v_mul_f32_e64 v53, v53, s6                                 // 000000009A54: D1050035 00000D35
	v_mul_f32_e64 v54, v54, s6                                 // 000000009A5C: D1050036 00000D36
	v_mul_f32_e64 v55, v55, s6                                 // 000000009A64: D1050037 00000D37
	v_exp_f32_e32 v52, v52                                     // 000000009A6C: 7E684134
	v_exp_f32_e32 v53, v53                                     // 000000009A70: 7E6A4135
	v_exp_f32_e32 v54, v54                                     // 000000009A74: 7E6C4136
	v_exp_f32_e32 v55, v55                                     // 000000009A78: 7E6E4137
	buffer_load_dwordx4 a[36:39], v42, s[12:15], 0 offen       // 000000009A7C: E05C1000 8083242A
	v_add_f32_e64 v52, v52, 1.0                                // 000000009A84: D1010034 0001E534
	v_add_f32_e64 v53, v53, 1.0                                // 000000009A8C: D1010035 0001E535
	v_add_f32_e64 v54, v54, 1.0                                // 000000009A94: D1010036 0001E536
	v_add_f32_e64 v55, v55, 1.0                                // 000000009A9C: D1010037 0001E537
	v_rcp_f32_e32 v52, v52                                     // 000000009AA4: 7E684534
	v_rcp_f32_e32 v53, v53                                     // 000000009AA8: 7E6A4535
	v_rcp_f32_e32 v54, v54                                     // 000000009AAC: 7E6C4536
	v_rcp_f32_e32 v55, v55                                     // 000000009AB0: 7E6E4537
	v_mul_f32_e32 v144, v144, v52                              // 000000009AB4: 0B206990
	v_mul_f32_e32 v145, v145, v53                              // 000000009AB8: 0B226B91
	v_mul_f32_e32 v146, v146, v54                              // 000000009ABC: 0B246D92
	v_mul_f32_e32 v147, v147, v55                              // 000000009AC0: 0B266F93
	v_mul_f32_e32 v144, v144, v80                              // 000000009AC4: 0B20A190
	v_mul_f32_e32 v145, v145, v81                              // 000000009AC8: 0B22A391
	v_mul_f32_e32 v146, v146, v82                              // 000000009ACC: 0B24A592
	v_mul_f32_e32 v147, v147, v83                              // 000000009AD0: 0B26A793
	buffer_load_dwordx4 a[40:43], v43, s[12:15], 0 offen       // 000000009AD4: E05C1000 8083282B
	v_mul_f32_e32 v52, v148, v148                              // 000000009ADC: 0A692994
	v_mul_f32_e32 v53, v149, v149                              // 000000009AE0: 0A6B2B95
	v_mul_f32_e32 v54, v150, v150                              // 000000009AE4: 0A6D2D96
	v_mul_f32_e32 v55, v151, v151                              // 000000009AE8: 0A6F2F97
	v_fma_f32 v52, v52, s77, v1                                // 000000009AEC: D1CB0034 04049B34
	v_fma_f32 v53, v53, s77, v1                                // 000000009AF4: D1CB0035 04049B35
	v_fma_f32 v54, v54, s77, v1                                // 000000009AFC: D1CB0036 04049B36
	v_fma_f32 v55, v55, s77, v1                                // 000000009B04: D1CB0037 04049B37
	v_mul_f32_e32 v52, v52, v148                               // 000000009B0C: 0A692934
	v_mul_f32_e32 v53, v53, v149                               // 000000009B10: 0A6B2B35
	v_mul_f32_e32 v54, v54, v150                               // 000000009B14: 0A6D2D36
	v_mul_f32_e32 v55, v55, v151                               // 000000009B18: 0A6F2F37
	v_mul_f32_e64 v52, v52, s6                                 // 000000009B1C: D1050034 00000D34
	v_mul_f32_e64 v53, v53, s6                                 // 000000009B24: D1050035 00000D35
	v_mul_f32_e64 v54, v54, s6                                 // 000000009B2C: D1050036 00000D36
	v_mul_f32_e64 v55, v55, s6                                 // 000000009B34: D1050037 00000D37
	v_exp_f32_e32 v52, v52                                     // 000000009B3C: 7E684134
	v_exp_f32_e32 v53, v53                                     // 000000009B40: 7E6A4135
	v_exp_f32_e32 v54, v54                                     // 000000009B44: 7E6C4136
	v_exp_f32_e32 v55, v55                                     // 000000009B48: 7E6E4137
	buffer_load_dwordx4 a[44:47], v44, s[12:15], 0 offen       // 000000009B4C: E05C1000 80832C2C
	s_add_u32 s12, s78, s12                                    // 000000009B54: 800C0C4E
	s_addc_u32 s13, 0, s13                                     // 000000009B58: 820D0D80
	v_add_f32_e64 v52, v52, 1.0                                // 000000009B5C: D1010034 0001E534
	v_add_f32_e64 v53, v53, 1.0                                // 000000009B64: D1010035 0001E535
	v_add_f32_e64 v54, v54, 1.0                                // 000000009B6C: D1010036 0001E536
	v_add_f32_e64 v55, v55, 1.0                                // 000000009B74: D1010037 0001E537
	v_rcp_f32_e32 v52, v52                                     // 000000009B7C: 7E684534
	v_rcp_f32_e32 v53, v53                                     // 000000009B80: 7E6A4535
	v_rcp_f32_e32 v54, v54                                     // 000000009B84: 7E6C4536
	v_rcp_f32_e32 v55, v55                                     // 000000009B88: 7E6E4537
	v_mul_f32_e32 v148, v148, v52                              // 000000009B8C: 0B286994
	v_mul_f32_e32 v149, v149, v53                              // 000000009B90: 0B2A6B95
	v_mul_f32_e32 v150, v150, v54                              // 000000009B94: 0B2C6D96
	v_mul_f32_e32 v151, v151, v55                              // 000000009B98: 0B2E6F97
	v_mul_f32_e32 v148, v148, v84                              // 000000009B9C: 0B28A994
	v_mul_f32_e32 v149, v149, v85                              // 000000009BA0: 0B2AAB95
	v_mul_f32_e32 v150, v150, v86                              // 000000009BA4: 0B2CAD96
	v_mul_f32_e32 v151, v151, v87                              // 000000009BA8: 0B2EAF97
	s_waitcnt vmcnt(24)                                        // 000000009BAC: BF8C4F78
	buffer_load_dwordx4 a[48:51], v41, s[12:15], 0 offen       // 000000009BB0: E05C1000 80833029
	v_mul_f32_e32 v52, v152, v152                              // 000000009BB8: 0A693198
	v_mul_f32_e32 v53, v153, v153                              // 000000009BBC: 0A6B3399
	v_mul_f32_e32 v54, v154, v154                              // 000000009BC0: 0A6D359A
	v_mul_f32_e32 v55, v155, v155                              // 000000009BC4: 0A6F379B
	v_fma_f32 v52, v52, s77, v1                                // 000000009BC8: D1CB0034 04049B34
	v_fma_f32 v53, v53, s77, v1                                // 000000009BD0: D1CB0035 04049B35
	v_fma_f32 v54, v54, s77, v1                                // 000000009BD8: D1CB0036 04049B36
	v_fma_f32 v55, v55, s77, v1                                // 000000009BE0: D1CB0037 04049B37
	v_mul_f32_e32 v52, v52, v152                               // 000000009BE8: 0A693134
	v_mul_f32_e32 v53, v53, v153                               // 000000009BEC: 0A6B3335
	v_mul_f32_e32 v54, v54, v154                               // 000000009BF0: 0A6D3536
	v_mul_f32_e32 v55, v55, v155                               // 000000009BF4: 0A6F3737
	v_mul_f32_e64 v52, v52, s6                                 // 000000009BF8: D1050034 00000D34
	v_mul_f32_e64 v53, v53, s6                                 // 000000009C00: D1050035 00000D35
	v_mul_f32_e64 v54, v54, s6                                 // 000000009C08: D1050036 00000D36
	v_mul_f32_e64 v55, v55, s6                                 // 000000009C10: D1050037 00000D37
	v_exp_f32_e32 v52, v52                                     // 000000009C18: 7E684134
	v_exp_f32_e32 v53, v53                                     // 000000009C1C: 7E6A4135
	v_exp_f32_e32 v54, v54                                     // 000000009C20: 7E6C4136
	v_exp_f32_e32 v55, v55                                     // 000000009C24: 7E6E4137
	buffer_load_dwordx4 a[52:55], v42, s[12:15], 0 offen       // 000000009C28: E05C1000 8083342A
	v_add_f32_e64 v52, v52, 1.0                                // 000000009C30: D1010034 0001E534
	v_add_f32_e64 v53, v53, 1.0                                // 000000009C38: D1010035 0001E535
	v_add_f32_e64 v54, v54, 1.0                                // 000000009C40: D1010036 0001E536
	v_add_f32_e64 v55, v55, 1.0                                // 000000009C48: D1010037 0001E537
	v_rcp_f32_e32 v52, v52                                     // 000000009C50: 7E684534
	v_rcp_f32_e32 v53, v53                                     // 000000009C54: 7E6A4535
	v_rcp_f32_e32 v54, v54                                     // 000000009C58: 7E6C4536
	v_rcp_f32_e32 v55, v55                                     // 000000009C5C: 7E6E4537
	v_mul_f32_e32 v152, v152, v52                              // 000000009C60: 0B306998
	v_mul_f32_e32 v153, v153, v53                              // 000000009C64: 0B326B99
	v_mul_f32_e32 v154, v154, v54                              // 000000009C68: 0B346D9A
	v_mul_f32_e32 v155, v155, v55                              // 000000009C6C: 0B366F9B
	v_mul_f32_e32 v152, v152, v88                              // 000000009C70: 0B30B198
	v_mul_f32_e32 v153, v153, v89                              // 000000009C74: 0B32B399
	v_mul_f32_e32 v154, v154, v90                              // 000000009C78: 0B34B59A
	v_mul_f32_e32 v155, v155, v91                              // 000000009C7C: 0B36B79B
	buffer_load_dwordx4 a[56:59], v43, s[12:15], 0 offen       // 000000009C80: E05C1000 8083382B
	v_mul_f32_e32 v52, v156, v156                              // 000000009C88: 0A69399C
	v_mul_f32_e32 v53, v157, v157                              // 000000009C8C: 0A6B3B9D
	v_mul_f32_e32 v54, v158, v158                              // 000000009C90: 0A6D3D9E
	v_mul_f32_e32 v55, v159, v159                              // 000000009C94: 0A6F3F9F
	v_fma_f32 v52, v52, s77, v1                                // 000000009C98: D1CB0034 04049B34
	v_fma_f32 v53, v53, s77, v1                                // 000000009CA0: D1CB0035 04049B35
	v_fma_f32 v54, v54, s77, v1                                // 000000009CA8: D1CB0036 04049B36
	v_fma_f32 v55, v55, s77, v1                                // 000000009CB0: D1CB0037 04049B37
	v_mul_f32_e32 v52, v52, v156                               // 000000009CB8: 0A693934
	v_mul_f32_e32 v53, v53, v157                               // 000000009CBC: 0A6B3B35
	v_mul_f32_e32 v54, v54, v158                               // 000000009CC0: 0A6D3D36
	v_mul_f32_e32 v55, v55, v159                               // 000000009CC4: 0A6F3F37
	v_mul_f32_e64 v52, v52, s6                                 // 000000009CC8: D1050034 00000D34
	v_mul_f32_e64 v53, v53, s6                                 // 000000009CD0: D1050035 00000D35
	v_mul_f32_e64 v54, v54, s6                                 // 000000009CD8: D1050036 00000D36
	v_mul_f32_e64 v55, v55, s6                                 // 000000009CE0: D1050037 00000D37
	v_exp_f32_e32 v52, v52                                     // 000000009CE8: 7E684134
	v_exp_f32_e32 v53, v53                                     // 000000009CEC: 7E6A4135
	v_exp_f32_e32 v54, v54                                     // 000000009CF0: 7E6C4136
	v_exp_f32_e32 v55, v55                                     // 000000009CF4: 7E6E4137
	buffer_load_dwordx4 a[60:63], v44, s[12:15], 0 offen       // 000000009CF8: E05C1000 80833C2C
	s_add_u32 s12, s78, s12                                    // 000000009D00: 800C0C4E
	s_addc_u32 s13, 0, s13                                     // 000000009D04: 820D0D80
	v_add_f32_e64 v52, v52, 1.0                                // 000000009D08: D1010034 0001E534
	v_add_f32_e64 v53, v53, 1.0                                // 000000009D10: D1010035 0001E535
	v_add_f32_e64 v54, v54, 1.0                                // 000000009D18: D1010036 0001E536
	v_add_f32_e64 v55, v55, 1.0                                // 000000009D20: D1010037 0001E537
	v_rcp_f32_e32 v52, v52                                     // 000000009D28: 7E684534
	v_rcp_f32_e32 v53, v53                                     // 000000009D2C: 7E6A4535
	v_rcp_f32_e32 v54, v54                                     // 000000009D30: 7E6C4536
	v_rcp_f32_e32 v55, v55                                     // 000000009D34: 7E6E4537
	v_mul_f32_e32 v156, v156, v52                              // 000000009D38: 0B38699C
	v_mul_f32_e32 v157, v157, v53                              // 000000009D3C: 0B3A6B9D
	v_mul_f32_e32 v158, v158, v54                              // 000000009D40: 0B3C6D9E
	v_mul_f32_e32 v159, v159, v55                              // 000000009D44: 0B3E6F9F
	v_mul_f32_e32 v156, v156, v92                              // 000000009D48: 0B38B99C
	v_mul_f32_e32 v157, v157, v93                              // 000000009D4C: 0B3ABB9D
	v_mul_f32_e32 v158, v158, v94                              // 000000009D50: 0B3CBD9E
	v_mul_f32_e32 v159, v159, v95                              // 000000009D54: 0B3EBF9F
	s_waitcnt vmcnt(24)                                        // 000000009D58: BF8C4F78
	buffer_load_dwordx4 a[64:67], v41, s[12:15], 0 offen       // 000000009D5C: E05C1000 80834029
	v_mul_f32_e32 v52, v160, v160                              // 000000009D64: 0A6941A0
	v_mul_f32_e32 v53, v161, v161                              // 000000009D68: 0A6B43A1
	v_mul_f32_e32 v54, v162, v162                              // 000000009D6C: 0A6D45A2
	v_mul_f32_e32 v55, v163, v163                              // 000000009D70: 0A6F47A3
	v_fma_f32 v52, v52, s77, v1                                // 000000009D74: D1CB0034 04049B34
	v_fma_f32 v53, v53, s77, v1                                // 000000009D7C: D1CB0035 04049B35
	v_fma_f32 v54, v54, s77, v1                                // 000000009D84: D1CB0036 04049B36
	v_fma_f32 v55, v55, s77, v1                                // 000000009D8C: D1CB0037 04049B37
	v_mul_f32_e32 v52, v52, v160                               // 000000009D94: 0A694134
	v_mul_f32_e32 v53, v53, v161                               // 000000009D98: 0A6B4335
	v_mul_f32_e32 v54, v54, v162                               // 000000009D9C: 0A6D4536
	v_mul_f32_e32 v55, v55, v163                               // 000000009DA0: 0A6F4737
	v_mul_f32_e64 v52, v52, s6                                 // 000000009DA4: D1050034 00000D34
	v_mul_f32_e64 v53, v53, s6                                 // 000000009DAC: D1050035 00000D35
	v_mul_f32_e64 v54, v54, s6                                 // 000000009DB4: D1050036 00000D36
	v_mul_f32_e64 v55, v55, s6                                 // 000000009DBC: D1050037 00000D37
	v_exp_f32_e32 v52, v52                                     // 000000009DC4: 7E684134
	v_exp_f32_e32 v53, v53                                     // 000000009DC8: 7E6A4135
	v_exp_f32_e32 v54, v54                                     // 000000009DCC: 7E6C4136
	v_exp_f32_e32 v55, v55                                     // 000000009DD0: 7E6E4137
	buffer_load_dwordx4 a[68:71], v42, s[12:15], 0 offen       // 000000009DD4: E05C1000 8083442A
	v_add_f32_e64 v52, v52, 1.0                                // 000000009DDC: D1010034 0001E534
	v_add_f32_e64 v53, v53, 1.0                                // 000000009DE4: D1010035 0001E535
	v_add_f32_e64 v54, v54, 1.0                                // 000000009DEC: D1010036 0001E536
	v_add_f32_e64 v55, v55, 1.0                                // 000000009DF4: D1010037 0001E537
	v_rcp_f32_e32 v52, v52                                     // 000000009DFC: 7E684534
	v_rcp_f32_e32 v53, v53                                     // 000000009E00: 7E6A4535
	v_rcp_f32_e32 v54, v54                                     // 000000009E04: 7E6C4536
	v_rcp_f32_e32 v55, v55                                     // 000000009E08: 7E6E4537
	v_mul_f32_e32 v160, v160, v52                              // 000000009E0C: 0B4069A0
	v_mul_f32_e32 v161, v161, v53                              // 000000009E10: 0B426BA1
	v_mul_f32_e32 v162, v162, v54                              // 000000009E14: 0B446DA2
	v_mul_f32_e32 v163, v163, v55                              // 000000009E18: 0B466FA3
	v_mul_f32_e32 v160, v160, v96                              // 000000009E1C: 0B40C1A0
	v_mul_f32_e32 v161, v161, v97                              // 000000009E20: 0B42C3A1
	v_mul_f32_e32 v162, v162, v98                              // 000000009E24: 0B44C5A2
	v_mul_f32_e32 v163, v163, v99                              // 000000009E28: 0B46C7A3
	buffer_load_dwordx4 a[72:75], v43, s[12:15], 0 offen       // 000000009E2C: E05C1000 8083482B
	v_mul_f32_e32 v52, v164, v164                              // 000000009E34: 0A6949A4
	v_mul_f32_e32 v53, v165, v165                              // 000000009E38: 0A6B4BA5
	v_mul_f32_e32 v54, v166, v166                              // 000000009E3C: 0A6D4DA6
	v_mul_f32_e32 v55, v167, v167                              // 000000009E40: 0A6F4FA7
	v_fma_f32 v52, v52, s77, v1                                // 000000009E44: D1CB0034 04049B34
	v_fma_f32 v53, v53, s77, v1                                // 000000009E4C: D1CB0035 04049B35
	v_fma_f32 v54, v54, s77, v1                                // 000000009E54: D1CB0036 04049B36
	v_fma_f32 v55, v55, s77, v1                                // 000000009E5C: D1CB0037 04049B37
	v_mul_f32_e32 v52, v52, v164                               // 000000009E64: 0A694934
	v_mul_f32_e32 v53, v53, v165                               // 000000009E68: 0A6B4B35
	v_mul_f32_e32 v54, v54, v166                               // 000000009E6C: 0A6D4D36
	v_mul_f32_e32 v55, v55, v167                               // 000000009E70: 0A6F4F37
	v_mul_f32_e64 v52, v52, s6                                 // 000000009E74: D1050034 00000D34
	v_mul_f32_e64 v53, v53, s6                                 // 000000009E7C: D1050035 00000D35
	v_mul_f32_e64 v54, v54, s6                                 // 000000009E84: D1050036 00000D36
	v_mul_f32_e64 v55, v55, s6                                 // 000000009E8C: D1050037 00000D37
	v_exp_f32_e32 v52, v52                                     // 000000009E94: 7E684134
	v_exp_f32_e32 v53, v53                                     // 000000009E98: 7E6A4135
	v_exp_f32_e32 v54, v54                                     // 000000009E9C: 7E6C4136
	v_exp_f32_e32 v55, v55                                     // 000000009EA0: 7E6E4137
	buffer_load_dwordx4 a[76:79], v44, s[12:15], 0 offen       // 000000009EA4: E05C1000 80834C2C
	s_add_u32 s12, s78, s12                                    // 000000009EAC: 800C0C4E
	s_addc_u32 s13, 0, s13                                     // 000000009EB0: 820D0D80
	v_add_f32_e64 v52, v52, 1.0                                // 000000009EB4: D1010034 0001E534
	v_add_f32_e64 v53, v53, 1.0                                // 000000009EBC: D1010035 0001E535
	v_add_f32_e64 v54, v54, 1.0                                // 000000009EC4: D1010036 0001E536
	v_add_f32_e64 v55, v55, 1.0                                // 000000009ECC: D1010037 0001E537
	v_rcp_f32_e32 v52, v52                                     // 000000009ED4: 7E684534
	v_rcp_f32_e32 v53, v53                                     // 000000009ED8: 7E6A4535
	v_rcp_f32_e32 v54, v54                                     // 000000009EDC: 7E6C4536
	v_rcp_f32_e32 v55, v55                                     // 000000009EE0: 7E6E4537
	v_mul_f32_e32 v164, v164, v52                              // 000000009EE4: 0B4869A4
	v_mul_f32_e32 v165, v165, v53                              // 000000009EE8: 0B4A6BA5
	v_mul_f32_e32 v166, v166, v54                              // 000000009EEC: 0B4C6DA6
	v_mul_f32_e32 v167, v167, v55                              // 000000009EF0: 0B4E6FA7
	v_mul_f32_e32 v164, v164, v100                             // 000000009EF4: 0B48C9A4
	v_mul_f32_e32 v165, v165, v101                             // 000000009EF8: 0B4ACBA5
	v_mul_f32_e32 v166, v166, v102                             // 000000009EFC: 0B4CCDA6
	v_mul_f32_e32 v167, v167, v103                             // 000000009F00: 0B4ECFA7
	s_waitcnt vmcnt(24)                                        // 000000009F04: BF8C4F78
	buffer_load_dwordx4 a[80:83], v41, s[12:15], 0 offen       // 000000009F08: E05C1000 80835029
	v_mul_f32_e32 v52, v168, v168                              // 000000009F10: 0A6951A8
	v_mul_f32_e32 v53, v169, v169                              // 000000009F14: 0A6B53A9
	v_mul_f32_e32 v54, v170, v170                              // 000000009F18: 0A6D55AA
	v_mul_f32_e32 v55, v171, v171                              // 000000009F1C: 0A6F57AB
	v_fma_f32 v52, v52, s77, v1                                // 000000009F20: D1CB0034 04049B34
	v_fma_f32 v53, v53, s77, v1                                // 000000009F28: D1CB0035 04049B35
	v_fma_f32 v54, v54, s77, v1                                // 000000009F30: D1CB0036 04049B36
	v_fma_f32 v55, v55, s77, v1                                // 000000009F38: D1CB0037 04049B37
	v_mul_f32_e32 v52, v52, v168                               // 000000009F40: 0A695134
	v_mul_f32_e32 v53, v53, v169                               // 000000009F44: 0A6B5335
	v_mul_f32_e32 v54, v54, v170                               // 000000009F48: 0A6D5536
	v_mul_f32_e32 v55, v55, v171                               // 000000009F4C: 0A6F5737
	v_mul_f32_e64 v52, v52, s6                                 // 000000009F50: D1050034 00000D34
	v_mul_f32_e64 v53, v53, s6                                 // 000000009F58: D1050035 00000D35
	v_mul_f32_e64 v54, v54, s6                                 // 000000009F60: D1050036 00000D36
	v_mul_f32_e64 v55, v55, s6                                 // 000000009F68: D1050037 00000D37
	v_exp_f32_e32 v52, v52                                     // 000000009F70: 7E684134
	v_exp_f32_e32 v53, v53                                     // 000000009F74: 7E6A4135
	v_exp_f32_e32 v54, v54                                     // 000000009F78: 7E6C4136
	v_exp_f32_e32 v55, v55                                     // 000000009F7C: 7E6E4137
	buffer_load_dwordx4 a[84:87], v42, s[12:15], 0 offen       // 000000009F80: E05C1000 8083542A
	v_add_f32_e64 v52, v52, 1.0                                // 000000009F88: D1010034 0001E534
	v_add_f32_e64 v53, v53, 1.0                                // 000000009F90: D1010035 0001E535
	v_add_f32_e64 v54, v54, 1.0                                // 000000009F98: D1010036 0001E536
	v_add_f32_e64 v55, v55, 1.0                                // 000000009FA0: D1010037 0001E537
	v_rcp_f32_e32 v52, v52                                     // 000000009FA8: 7E684534
	v_rcp_f32_e32 v53, v53                                     // 000000009FAC: 7E6A4535
	v_rcp_f32_e32 v54, v54                                     // 000000009FB0: 7E6C4536
	v_rcp_f32_e32 v55, v55                                     // 000000009FB4: 7E6E4537
	v_mul_f32_e32 v168, v168, v52                              // 000000009FB8: 0B5069A8
	v_mul_f32_e32 v169, v169, v53                              // 000000009FBC: 0B526BA9
	v_mul_f32_e32 v170, v170, v54                              // 000000009FC0: 0B546DAA
	v_mul_f32_e32 v171, v171, v55                              // 000000009FC4: 0B566FAB
	v_mul_f32_e32 v168, v168, v104                             // 000000009FC8: 0B50D1A8
	v_mul_f32_e32 v169, v169, v105                             // 000000009FCC: 0B52D3A9
	v_mul_f32_e32 v170, v170, v106                             // 000000009FD0: 0B54D5AA
	v_mul_f32_e32 v171, v171, v107                             // 000000009FD4: 0B56D7AB
	buffer_load_dwordx4 a[88:91], v43, s[12:15], 0 offen       // 000000009FD8: E05C1000 8083582B
	v_mul_f32_e32 v52, v172, v172                              // 000000009FE0: 0A6959AC
	v_mul_f32_e32 v53, v173, v173                              // 000000009FE4: 0A6B5BAD
	v_mul_f32_e32 v54, v174, v174                              // 000000009FE8: 0A6D5DAE
	v_mul_f32_e32 v55, v175, v175                              // 000000009FEC: 0A6F5FAF
	v_fma_f32 v52, v52, s77, v1                                // 000000009FF0: D1CB0034 04049B34
	v_fma_f32 v53, v53, s77, v1                                // 000000009FF8: D1CB0035 04049B35
	v_fma_f32 v54, v54, s77, v1                                // 00000000A000: D1CB0036 04049B36
	v_fma_f32 v55, v55, s77, v1                                // 00000000A008: D1CB0037 04049B37
	v_mul_f32_e32 v52, v52, v172                               // 00000000A010: 0A695934
	v_mul_f32_e32 v53, v53, v173                               // 00000000A014: 0A6B5B35
	v_mul_f32_e32 v54, v54, v174                               // 00000000A018: 0A6D5D36
	v_mul_f32_e32 v55, v55, v175                               // 00000000A01C: 0A6F5F37
	v_mul_f32_e64 v52, v52, s6                                 // 00000000A020: D1050034 00000D34
	v_mul_f32_e64 v53, v53, s6                                 // 00000000A028: D1050035 00000D35
	v_mul_f32_e64 v54, v54, s6                                 // 00000000A030: D1050036 00000D36
	v_mul_f32_e64 v55, v55, s6                                 // 00000000A038: D1050037 00000D37
	v_exp_f32_e32 v52, v52                                     // 00000000A040: 7E684134
	v_exp_f32_e32 v53, v53                                     // 00000000A044: 7E6A4135
	v_exp_f32_e32 v54, v54                                     // 00000000A048: 7E6C4136
	v_exp_f32_e32 v55, v55                                     // 00000000A04C: 7E6E4137
	buffer_load_dwordx4 a[92:95], v44, s[12:15], 0 offen       // 00000000A050: E05C1000 80835C2C
	s_add_u32 s12, s78, s12                                    // 00000000A058: 800C0C4E
	s_addc_u32 s13, 0, s13                                     // 00000000A05C: 820D0D80
	v_add_f32_e64 v52, v52, 1.0                                // 00000000A060: D1010034 0001E534
	v_add_f32_e64 v53, v53, 1.0                                // 00000000A068: D1010035 0001E535
	v_add_f32_e64 v54, v54, 1.0                                // 00000000A070: D1010036 0001E536
	v_add_f32_e64 v55, v55, 1.0                                // 00000000A078: D1010037 0001E537
	v_rcp_f32_e32 v52, v52                                     // 00000000A080: 7E684534
	v_rcp_f32_e32 v53, v53                                     // 00000000A084: 7E6A4535
	v_rcp_f32_e32 v54, v54                                     // 00000000A088: 7E6C4536
	v_rcp_f32_e32 v55, v55                                     // 00000000A08C: 7E6E4537
	v_mul_f32_e32 v172, v172, v52                              // 00000000A090: 0B5869AC
	v_mul_f32_e32 v173, v173, v53                              // 00000000A094: 0B5A6BAD
	v_mul_f32_e32 v174, v174, v54                              // 00000000A098: 0B5C6DAE
	v_mul_f32_e32 v175, v175, v55                              // 00000000A09C: 0B5E6FAF
	v_mul_f32_e32 v172, v172, v108                             // 00000000A0A0: 0B58D9AC
	v_mul_f32_e32 v173, v173, v109                             // 00000000A0A4: 0B5ADBAD
	v_mul_f32_e32 v174, v174, v110                             // 00000000A0A8: 0B5CDDAE
	v_mul_f32_e32 v175, v175, v111                             // 00000000A0AC: 0B5EDFAF
	s_waitcnt vmcnt(24)                                        // 00000000A0B0: BF8C4F78
	buffer_load_dwordx4 a[96:99], v41, s[12:15], 0 offen       // 00000000A0B4: E05C1000 80836029
	v_mul_f32_e32 v52, v176, v176                              // 00000000A0BC: 0A6961B0
	v_mul_f32_e32 v53, v177, v177                              // 00000000A0C0: 0A6B63B1
	v_mul_f32_e32 v54, v178, v178                              // 00000000A0C4: 0A6D65B2
	v_mul_f32_e32 v55, v179, v179                              // 00000000A0C8: 0A6F67B3
	v_fma_f32 v52, v52, s77, v1                                // 00000000A0CC: D1CB0034 04049B34
	v_fma_f32 v53, v53, s77, v1                                // 00000000A0D4: D1CB0035 04049B35
	v_fma_f32 v54, v54, s77, v1                                // 00000000A0DC: D1CB0036 04049B36
	v_fma_f32 v55, v55, s77, v1                                // 00000000A0E4: D1CB0037 04049B37
	v_mul_f32_e32 v52, v52, v176                               // 00000000A0EC: 0A696134
	v_mul_f32_e32 v53, v53, v177                               // 00000000A0F0: 0A6B6335
	v_mul_f32_e32 v54, v54, v178                               // 00000000A0F4: 0A6D6536
	v_mul_f32_e32 v55, v55, v179                               // 00000000A0F8: 0A6F6737
	v_mul_f32_e64 v52, v52, s6                                 // 00000000A0FC: D1050034 00000D34
	v_mul_f32_e64 v53, v53, s6                                 // 00000000A104: D1050035 00000D35
	v_mul_f32_e64 v54, v54, s6                                 // 00000000A10C: D1050036 00000D36
	v_mul_f32_e64 v55, v55, s6                                 // 00000000A114: D1050037 00000D37
	v_exp_f32_e32 v52, v52                                     // 00000000A11C: 7E684134
	v_exp_f32_e32 v53, v53                                     // 00000000A120: 7E6A4135
	v_exp_f32_e32 v54, v54                                     // 00000000A124: 7E6C4136
	v_exp_f32_e32 v55, v55                                     // 00000000A128: 7E6E4137
	buffer_load_dwordx4 a[100:103], v42, s[12:15], 0 offen     // 00000000A12C: E05C1000 8083642A
	v_add_f32_e64 v52, v52, 1.0                                // 00000000A134: D1010034 0001E534
	v_add_f32_e64 v53, v53, 1.0                                // 00000000A13C: D1010035 0001E535
	v_add_f32_e64 v54, v54, 1.0                                // 00000000A144: D1010036 0001E536
	v_add_f32_e64 v55, v55, 1.0                                // 00000000A14C: D1010037 0001E537
	v_rcp_f32_e32 v52, v52                                     // 00000000A154: 7E684534
	v_rcp_f32_e32 v53, v53                                     // 00000000A158: 7E6A4535
	v_rcp_f32_e32 v54, v54                                     // 00000000A15C: 7E6C4536
	v_rcp_f32_e32 v55, v55                                     // 00000000A160: 7E6E4537
	v_mul_f32_e32 v176, v176, v52                              // 00000000A164: 0B6069B0
	v_mul_f32_e32 v177, v177, v53                              // 00000000A168: 0B626BB1
	v_mul_f32_e32 v178, v178, v54                              // 00000000A16C: 0B646DB2
	v_mul_f32_e32 v179, v179, v55                              // 00000000A170: 0B666FB3
	v_mul_f32_e32 v176, v176, v112                             // 00000000A174: 0B60E1B0
	v_mul_f32_e32 v177, v177, v113                             // 00000000A178: 0B62E3B1
	v_mul_f32_e32 v178, v178, v114                             // 00000000A17C: 0B64E5B2
	v_mul_f32_e32 v179, v179, v115                             // 00000000A180: 0B66E7B3
	buffer_load_dwordx4 a[104:107], v43, s[12:15], 0 offen     // 00000000A184: E05C1000 8083682B
	v_mul_f32_e32 v52, v180, v180                              // 00000000A18C: 0A6969B4
	v_mul_f32_e32 v53, v181, v181                              // 00000000A190: 0A6B6BB5
	v_mul_f32_e32 v54, v182, v182                              // 00000000A194: 0A6D6DB6
	v_mul_f32_e32 v55, v183, v183                              // 00000000A198: 0A6F6FB7
	v_fma_f32 v52, v52, s77, v1                                // 00000000A19C: D1CB0034 04049B34
	v_fma_f32 v53, v53, s77, v1                                // 00000000A1A4: D1CB0035 04049B35
	v_fma_f32 v54, v54, s77, v1                                // 00000000A1AC: D1CB0036 04049B36
	v_fma_f32 v55, v55, s77, v1                                // 00000000A1B4: D1CB0037 04049B37
	v_mul_f32_e32 v52, v52, v180                               // 00000000A1BC: 0A696934
	v_mul_f32_e32 v53, v53, v181                               // 00000000A1C0: 0A6B6B35
	v_mul_f32_e32 v54, v54, v182                               // 00000000A1C4: 0A6D6D36
	v_mul_f32_e32 v55, v55, v183                               // 00000000A1C8: 0A6F6F37
	v_mul_f32_e64 v52, v52, s6                                 // 00000000A1CC: D1050034 00000D34
	v_mul_f32_e64 v53, v53, s6                                 // 00000000A1D4: D1050035 00000D35
	v_mul_f32_e64 v54, v54, s6                                 // 00000000A1DC: D1050036 00000D36
	v_mul_f32_e64 v55, v55, s6                                 // 00000000A1E4: D1050037 00000D37
	v_exp_f32_e32 v52, v52                                     // 00000000A1EC: 7E684134
	v_exp_f32_e32 v53, v53                                     // 00000000A1F0: 7E6A4135
	v_exp_f32_e32 v54, v54                                     // 00000000A1F4: 7E6C4136
	v_exp_f32_e32 v55, v55                                     // 00000000A1F8: 7E6E4137
	buffer_load_dwordx4 a[108:111], v44, s[12:15], 0 offen     // 00000000A1FC: E05C1000 80836C2C
	v_add_f32_e64 v52, v52, 1.0                                // 00000000A204: D1010034 0001E534
	v_add_f32_e64 v53, v53, 1.0                                // 00000000A20C: D1010035 0001E535
	v_add_f32_e64 v54, v54, 1.0                                // 00000000A214: D1010036 0001E536
	v_add_f32_e64 v55, v55, 1.0                                // 00000000A21C: D1010037 0001E537
	v_rcp_f32_e32 v52, v52                                     // 00000000A224: 7E684534
	v_rcp_f32_e32 v53, v53                                     // 00000000A228: 7E6A4535
	v_rcp_f32_e32 v54, v54                                     // 00000000A22C: 7E6C4536
	v_rcp_f32_e32 v55, v55                                     // 00000000A230: 7E6E4537
	v_mul_f32_e32 v180, v180, v52                              // 00000000A234: 0B6869B4
	v_mul_f32_e32 v181, v181, v53                              // 00000000A238: 0B6A6BB5
	v_mul_f32_e32 v182, v182, v54                              // 00000000A23C: 0B6C6DB6
	v_mul_f32_e32 v183, v183, v55                              // 00000000A240: 0B6E6FB7
	v_mul_f32_e32 v180, v180, v116                             // 00000000A244: 0B68E9B4
	v_mul_f32_e32 v181, v181, v117                             // 00000000A248: 0B6AEBB5
	v_mul_f32_e32 v182, v182, v118                             // 00000000A24C: 0B6CEDB6
	v_mul_f32_e32 v183, v183, v119                             // 00000000A250: 0B6EEFB7
	v_lshlrev_b32_e32 v52, 2, v0                               // 00000000A254: 24680082
	s_mul_i32 s60, s82, s71                                    // 00000000A258: 923C4752
	v_add_u32_e64 v80, v52, s60                                // 00000000A25C: D1340050 00007934
	v_mov_b32_e32 v81, 0                                       // 00000000A264: 7EA20280
	s_mul_i32 s60, s83, s71                                    // 00000000A268: 923C4753
	v_add_u32_e64 v82, v52, s60                                // 00000000A26C: D1340052 00007934
	v_mov_b32_e32 v83, 0                                       // 00000000A274: 7EA60280
	s_mul_i32 s60, s84, s71                                    // 00000000A278: 923C4754
	v_add_u32_e64 v84, v52, s60                                // 00000000A27C: D1340054 00007934
	v_mov_b32_e32 v85, 0                                       // 00000000A284: 7EAA0280
	s_mul_i32 s60, s85, s71                                    // 00000000A288: 923C4755
	v_add_u32_e64 v86, v52, s60                                // 00000000A28C: D1340056 00007934
	v_mov_b32_e32 v87, 0                                       // 00000000A294: 7EAE0280
	s_mul_i32 s60, s86, s71                                    // 00000000A298: 923C4756
	v_add_u32_e64 v88, v52, s60                                // 00000000A29C: D1340058 00007934
	v_mov_b32_e32 v89, 0                                       // 00000000A2A4: 7EB20280
	s_mul_i32 s60, s87, s71                                    // 00000000A2A8: 923C4757
	v_add_u32_e64 v90, v52, s60                                // 00000000A2AC: D134005A 00007934
	v_mov_b32_e32 v91, 0                                       // 00000000A2B4: 7EB60280
	s_mul_i32 s60, s88, s71                                    // 00000000A2B8: 923C4758
	v_add_u32_e64 v92, v52, s60                                // 00000000A2BC: D134005C 00007934
	v_mov_b32_e32 v93, 0                                       // 00000000A2C4: 7EBA0280
	s_mul_i32 s60, s89, s71                                    // 00000000A2C8: 923C4759
	v_add_u32_e64 v94, v52, s60                                // 00000000A2CC: D134005E 00007934
	v_mov_b32_e32 v95, 0                                       // 00000000A2D4: 7EBE0280
	buffer_load_dword v12, v5, s[16:19], 0 offen               // 00000000A2D8: E0501000 80040C05
	v_mov_b32_e32 v22, 0x358637bd                              // 00000000A2E0: 7E2C02FF 358637BD
	v_mov_b32_e32 v23, 0x358637bd                              // 00000000A2E8: 7E2E02FF 358637BD
	v_max3_f32 v22, |v128|, |v129|, v22                        // 00000000A2F0: D1D30316 045B0380
	v_max3_f32 v22, |v130|, |v131|, v22                        // 00000000A2F8: D1D30316 045B0782
	v_max3_f32 v23, |v132|, |v133|, v23                        // 00000000A300: D1D30317 045F0B84
	v_max3_f32 v23, |v134|, |v135|, v23                        // 00000000A308: D1D30317 045F0F86
	v_max3_f32 v22, |v136|, |v137|, v22                        // 00000000A310: D1D30316 045B1388
	v_max3_f32 v22, |v138|, |v139|, v22                        // 00000000A318: D1D30316 045B178A
	v_max3_f32 v23, |v140|, |v141|, v23                        // 00000000A320: D1D30317 045F1B8C
	v_max3_f32 v23, |v142|, |v143|, v23                        // 00000000A328: D1D30317 045F1F8E
	v_max3_f32 v22, |v144|, |v145|, v22                        // 00000000A330: D1D30316 045B2390
	v_max3_f32 v22, |v146|, |v147|, v22                        // 00000000A338: D1D30316 045B2792
	v_max3_f32 v23, |v148|, |v149|, v23                        // 00000000A340: D1D30317 045F2B94
	v_max3_f32 v23, |v150|, |v151|, v23                        // 00000000A348: D1D30317 045F2F96
	v_max3_f32 v22, |v152|, |v153|, v22                        // 00000000A350: D1D30316 045B3398
	v_max3_f32 v22, |v154|, |v155|, v22                        // 00000000A358: D1D30316 045B379A
	v_max3_f32 v23, |v156|, |v157|, v23                        // 00000000A360: D1D30317 045F3B9C
	v_max3_f32 v23, |v158|, |v159|, v23                        // 00000000A368: D1D30317 045F3F9E
	v_max3_f32 v22, |v160|, |v161|, v22                        // 00000000A370: D1D30316 045B43A0
	v_max3_f32 v22, |v162|, |v163|, v22                        // 00000000A378: D1D30316 045B47A2
	v_max3_f32 v23, |v164|, |v165|, v23                        // 00000000A380: D1D30317 045F4BA4
	v_max3_f32 v23, |v166|, |v167|, v23                        // 00000000A388: D1D30317 045F4FA6
	v_max3_f32 v22, |v168|, |v169|, v22                        // 00000000A390: D1D30316 045B53A8
	v_max3_f32 v22, |v170|, |v171|, v22                        // 00000000A398: D1D30316 045B57AA
	v_max3_f32 v23, |v172|, |v173|, v23                        // 00000000A3A0: D1D30317 045F5BAC
	v_max3_f32 v23, |v174|, |v175|, v23                        // 00000000A3A8: D1D30317 045F5FAE
	v_max3_f32 v22, |v176|, |v177|, v22                        // 00000000A3B0: D1D30316 045B63B0
	v_max3_f32 v22, |v178|, |v179|, v22                        // 00000000A3B8: D1D30316 045B67B2
	v_max3_f32 v23, |v180|, |v181|, v23                        // 00000000A3C0: D1D30317 045F6BB4
	v_max3_f32 v23, |v182|, |v183|, v23                        // 00000000A3C8: D1D30317 045F6FB6
	v_lshlrev_b32_e32 v52, 3, v0                               // 00000000A3D0: 24680083
	s_mul_i32 s60, 0x200, s7                                   // 00000000A3D4: 923C07FF 00000200
	v_add_u32_e32 v52, s60, v52                                // 00000000A3DC: 6868683C
	ds_write_b64 v52, v[22:23] offset:16640                    // 00000000A3E0: D89A4100 00001634
	s_waitcnt lgkmcnt(0)                                       // 00000000A3E8: BF8CC07F
	s_barrier                                                  // 00000000A3EC: BF8A0000
	v_and_b32_e32 v52, 15, v0                                  // 00000000A3F0: 2668008F
	v_lshlrev_b32_e32 v52, 3, v52                              // 00000000A3F4: 24686883
	ds_read_b64 v[96:97], v52 offset:16640                     // 00000000A3F8: D8EC4100 60000034
	ds_read_b64 v[98:99], v52 offset:16768                     // 00000000A400: D8EC4180 62000034
	ds_read_b64 v[100:101], v52 offset:16896                   // 00000000A408: D8EC4200 64000034
	ds_read_b64 v[102:103], v52 offset:17024                   // 00000000A410: D8EC4280 66000034
	ds_read_b64 v[104:105], v52 offset:17152                   // 00000000A418: D8EC4300 68000034
	ds_read_b64 v[106:107], v52 offset:17280                   // 00000000A420: D8EC4380 6A000034
	ds_read_b64 v[108:109], v52 offset:17408                   // 00000000A428: D8EC4400 6C000034
	ds_read_b64 v[110:111], v52 offset:17536                   // 00000000A430: D8EC4480 6E000034
	ds_read_b64 v[112:113], v52 offset:17664                   // 00000000A438: D8EC4500 70000034
	ds_read_b64 v[114:115], v52 offset:17792                   // 00000000A440: D8EC4580 72000034
	ds_read_b64 v[116:117], v52 offset:17920                   // 00000000A448: D8EC4600 74000034
	ds_read_b64 v[118:119], v52 offset:18048                   // 00000000A450: D8EC4680 76000034
	ds_read_b64 v[120:121], v52 offset:18176                   // 00000000A458: D8EC4700 78000034
	ds_read_b64 v[122:123], v52 offset:18304                   // 00000000A460: D8EC4780 7A000034
	ds_read_b64 v[124:125], v52 offset:18432                   // 00000000A468: D8EC4800 7C000034
	ds_read_b64 v[126:127], v52 offset:18560                   // 00000000A470: D8EC4880 7E000034
	s_waitcnt lgkmcnt(0)                                       // 00000000A478: BF8CC07F
	v_max3_f32 v22, |v96|, |v98|, v22                          // 00000000A47C: D1D30316 045AC560
	v_max3_f32 v23, |v97|, |v99|, v23                          // 00000000A484: D1D30317 045EC761
	v_max3_f32 v22, |v100|, |v102|, v22                        // 00000000A48C: D1D30316 045ACD64
	v_max3_f32 v23, |v101|, |v103|, v23                        // 00000000A494: D1D30317 045ECF65
	v_max3_f32 v22, |v104|, |v106|, v22                        // 00000000A49C: D1D30316 045AD568
	v_max3_f32 v23, |v105|, |v107|, v23                        // 00000000A4A4: D1D30317 045ED769
	v_max3_f32 v22, |v108|, |v110|, v22                        // 00000000A4AC: D1D30316 045ADD6C
	v_max3_f32 v23, |v109|, |v111|, v23                        // 00000000A4B4: D1D30317 045EDF6D
	v_max3_f32 v22, |v112|, |v114|, v22                        // 00000000A4BC: D1D30316 045AE570
	v_max3_f32 v23, |v113|, |v115|, v23                        // 00000000A4C4: D1D30317 045EE771
	v_max3_f32 v22, |v116|, |v118|, v22                        // 00000000A4CC: D1D30316 045AED74
	v_max3_f32 v23, |v117|, |v119|, v23                        // 00000000A4D4: D1D30317 045EEF75
	v_max3_f32 v22, |v120|, |v122|, v22                        // 00000000A4DC: D1D30316 045AF578
	v_max3_f32 v23, |v121|, |v123|, v23                        // 00000000A4E4: D1D30317 045EF779
	v_max3_f32 v22, |v124|, |v126|, v22                        // 00000000A4EC: D1D30316 045AFD7C
	v_max3_f32 v23, |v125|, |v127|, v23                        // 00000000A4F4: D1D30317 045EFF7D
	v_rcp_f32_e32 v22, v22                                     // 00000000A4FC: 7E2C4516
	v_rcp_f32_e32 v23, v23                                     // 00000000A500: 7E2E4517
	v_mov_b32_e32 v52, 0x43e00000                              // 00000000A504: 7E6802FF 43E00000
	v_mul_f32_e32 v22, v52, v22                                // 00000000A50C: 0A2C2D34
	v_mul_f32_e32 v23, v52, v23                                // 00000000A510: 0A2E2F34
	v_mul_f32_e32 v128, v22, v128                              // 00000000A514: 0B010116
	v_mul_f32_e32 v129, v22, v129                              // 00000000A518: 0B030316
	v_mul_f32_e32 v130, v22, v130                              // 00000000A51C: 0B050516
	v_mul_f32_e32 v131, v22, v131                              // 00000000A520: 0B070716
	v_cvt_pk_fp8_f32 v128, v128, v129                          // 00000000A524: D2A20080 00030380
	v_cvt_pk_fp8_f32 v128, v130, v131 op_sel:[0,0,1]           // 00000000A52C: D2A24080 00030782
	v_mul_f32_e32 v132, v23, v132                              // 00000000A534: 0B090917
	v_mul_f32_e32 v133, v23, v133                              // 00000000A538: 0B0B0B17
	v_mul_f32_e32 v134, v23, v134                              // 00000000A53C: 0B0D0D17
	v_mul_f32_e32 v135, v23, v135                              // 00000000A540: 0B0F0F17
	v_cvt_pk_fp8_f32 v129, v132, v133                          // 00000000A544: D2A20081 00030B84
	v_cvt_pk_fp8_f32 v129, v134, v135 op_sel:[0,0,1]           // 00000000A54C: D2A24081 00030F86
	v_mul_f32_e32 v136, v22, v136                              // 00000000A554: 0B111116
	v_mul_f32_e32 v137, v22, v137                              // 00000000A558: 0B131316
	v_mul_f32_e32 v138, v22, v138                              // 00000000A55C: 0B151516
	v_mul_f32_e32 v139, v22, v139                              // 00000000A560: 0B171716
	v_cvt_pk_fp8_f32 v130, v136, v137                          // 00000000A564: D2A20082 00031388
	v_cvt_pk_fp8_f32 v130, v138, v139 op_sel:[0,0,1]           // 00000000A56C: D2A24082 0003178A
	v_mul_f32_e32 v140, v23, v140                              // 00000000A574: 0B191917
	v_mul_f32_e32 v141, v23, v141                              // 00000000A578: 0B1B1B17
	v_mul_f32_e32 v142, v23, v142                              // 00000000A57C: 0B1D1D17
	v_mul_f32_e32 v143, v23, v143                              // 00000000A580: 0B1F1F17
	v_cvt_pk_fp8_f32 v131, v140, v141                          // 00000000A584: D2A20083 00031B8C
	v_cvt_pk_fp8_f32 v131, v142, v143 op_sel:[0,0,1]           // 00000000A58C: D2A24083 00031F8E
	v_mul_f32_e32 v144, v22, v144                              // 00000000A594: 0B212116
	v_mul_f32_e32 v145, v22, v145                              // 00000000A598: 0B232316
	v_mul_f32_e32 v146, v22, v146                              // 00000000A59C: 0B252516
	v_mul_f32_e32 v147, v22, v147                              // 00000000A5A0: 0B272716
	v_cvt_pk_fp8_f32 v132, v144, v145                          // 00000000A5A4: D2A20084 00032390
	v_cvt_pk_fp8_f32 v132, v146, v147 op_sel:[0,0,1]           // 00000000A5AC: D2A24084 00032792
	v_mul_f32_e32 v148, v23, v148                              // 00000000A5B4: 0B292917
	v_mul_f32_e32 v149, v23, v149                              // 00000000A5B8: 0B2B2B17
	v_mul_f32_e32 v150, v23, v150                              // 00000000A5BC: 0B2D2D17
	v_mul_f32_e32 v151, v23, v151                              // 00000000A5C0: 0B2F2F17
	v_cvt_pk_fp8_f32 v133, v148, v149                          // 00000000A5C4: D2A20085 00032B94
	v_cvt_pk_fp8_f32 v133, v150, v151 op_sel:[0,0,1]           // 00000000A5CC: D2A24085 00032F96
	v_mul_f32_e32 v152, v22, v152                              // 00000000A5D4: 0B313116
	v_mul_f32_e32 v153, v22, v153                              // 00000000A5D8: 0B333316
	v_mul_f32_e32 v154, v22, v154                              // 00000000A5DC: 0B353516
	v_mul_f32_e32 v155, v22, v155                              // 00000000A5E0: 0B373716
	v_cvt_pk_fp8_f32 v134, v152, v153                          // 00000000A5E4: D2A20086 00033398
	v_cvt_pk_fp8_f32 v134, v154, v155 op_sel:[0,0,1]           // 00000000A5EC: D2A24086 0003379A
	v_mul_f32_e32 v156, v23, v156                              // 00000000A5F4: 0B393917
	v_mul_f32_e32 v157, v23, v157                              // 00000000A5F8: 0B3B3B17
	v_mul_f32_e32 v158, v23, v158                              // 00000000A5FC: 0B3D3D17
	v_mul_f32_e32 v159, v23, v159                              // 00000000A600: 0B3F3F17
	v_cvt_pk_fp8_f32 v135, v156, v157                          // 00000000A604: D2A20087 00033B9C
	v_cvt_pk_fp8_f32 v135, v158, v159 op_sel:[0,0,1]           // 00000000A60C: D2A24087 00033F9E
	v_mul_f32_e32 v160, v22, v160                              // 00000000A614: 0B414116
	v_mul_f32_e32 v161, v22, v161                              // 00000000A618: 0B434316
	v_mul_f32_e32 v162, v22, v162                              // 00000000A61C: 0B454516
	v_mul_f32_e32 v163, v22, v163                              // 00000000A620: 0B474716
	v_cvt_pk_fp8_f32 v136, v160, v161                          // 00000000A624: D2A20088 000343A0
	v_cvt_pk_fp8_f32 v136, v162, v163 op_sel:[0,0,1]           // 00000000A62C: D2A24088 000347A2
	v_mul_f32_e32 v164, v23, v164                              // 00000000A634: 0B494917
	v_mul_f32_e32 v165, v23, v165                              // 00000000A638: 0B4B4B17
	v_mul_f32_e32 v166, v23, v166                              // 00000000A63C: 0B4D4D17
	v_mul_f32_e32 v167, v23, v167                              // 00000000A640: 0B4F4F17
	v_cvt_pk_fp8_f32 v137, v164, v165                          // 00000000A644: D2A20089 00034BA4
	v_cvt_pk_fp8_f32 v137, v166, v167 op_sel:[0,0,1]           // 00000000A64C: D2A24089 00034FA6
	v_mul_f32_e32 v168, v22, v168                              // 00000000A654: 0B515116
	v_mul_f32_e32 v169, v22, v169                              // 00000000A658: 0B535316
	v_mul_f32_e32 v170, v22, v170                              // 00000000A65C: 0B555516
	v_mul_f32_e32 v171, v22, v171                              // 00000000A660: 0B575716
	v_cvt_pk_fp8_f32 v138, v168, v169                          // 00000000A664: D2A2008A 000353A8
	v_cvt_pk_fp8_f32 v138, v170, v171 op_sel:[0,0,1]           // 00000000A66C: D2A2408A 000357AA
	v_mul_f32_e32 v172, v23, v172                              // 00000000A674: 0B595917
	v_mul_f32_e32 v173, v23, v173                              // 00000000A678: 0B5B5B17
	v_mul_f32_e32 v174, v23, v174                              // 00000000A67C: 0B5D5D17
	v_mul_f32_e32 v175, v23, v175                              // 00000000A680: 0B5F5F17
	v_cvt_pk_fp8_f32 v139, v172, v173                          // 00000000A684: D2A2008B 00035BAC
	v_cvt_pk_fp8_f32 v139, v174, v175 op_sel:[0,0,1]           // 00000000A68C: D2A2408B 00035FAE
	v_mul_f32_e32 v176, v22, v176                              // 00000000A694: 0B616116
	v_mul_f32_e32 v177, v22, v177                              // 00000000A698: 0B636316
	v_mul_f32_e32 v178, v22, v178                              // 00000000A69C: 0B656516
	v_mul_f32_e32 v179, v22, v179                              // 00000000A6A0: 0B676716
	v_cvt_pk_fp8_f32 v140, v176, v177                          // 00000000A6A4: D2A2008C 000363B0
	v_cvt_pk_fp8_f32 v140, v178, v179 op_sel:[0,0,1]           // 00000000A6AC: D2A2408C 000367B2
	v_mul_f32_e32 v180, v23, v180                              // 00000000A6B4: 0B696917
	v_mul_f32_e32 v181, v23, v181                              // 00000000A6B8: 0B6B6B17
	v_mul_f32_e32 v182, v23, v182                              // 00000000A6BC: 0B6D6D17
	v_mul_f32_e32 v183, v23, v183                              // 00000000A6C0: 0B6F6F17
	v_cvt_pk_fp8_f32 v141, v180, v181                          // 00000000A6C4: D2A2008D 00036BB4
	v_cvt_pk_fp8_f32 v141, v182, v183 op_sel:[0,0,1]           // 00000000A6CC: D2A2408D 00036FB6
	v_rcp_f32_e32 v24, v22                                     // 00000000A6D4: 7E304516
	v_rcp_f32_e32 v25, v23                                     // 00000000A6D8: 7E324517
	v_lshrrev_b32_e32 v52, 5, v0                               // 00000000A6DC: 20680085
	v_lshlrev_b32_e32 v53, 5, v52                              // 00000000A6E0: 246A6885
	v_and_b32_e32 v52, 31, v0                                  // 00000000A6E4: 2668009F
	v_lshrrev_b32_e32 v54, 4, v52                              // 00000000A6E8: 206C6884
	v_add_u32_e32 v53, v54, v53                                // 00000000A6EC: 686A6B36
	v_and_b32_e32 v52, 15, v0                                  // 00000000A6F0: 2668008F
	v_lshlrev_b32_e32 v52, 1, v52                              // 00000000A6F4: 24686881
	v_add_u32_e32 v53, v52, v53                                // 00000000A6F8: 686A6B34
	v_lshlrev_b32_e32 v52, 2, v53                              // 00000000A6FC: 24686A82
	s_mul_i32 s60, 0x100, s7                                   // 00000000A700: 923C07FF 00000100
	v_add_u32_e64 v52, v52, s60                                // 00000000A708: D1340034 00007934
	ds_write_b32 v52, v128 offset:18688                        // 00000000A710: D81A4900 00008034
	ds_write_b32 v52, v129 offset:25856                        // 00000000A718: D81A6500 00008134
	ds_write_b32 v52, v130 offset:19712                        // 00000000A720: D81A4D00 00008234
	ds_write_b32 v52, v131 offset:26880                        // 00000000A728: D81A6900 00008334
	ds_write_b32 v52, v132 offset:20736                        // 00000000A730: D81A5100 00008434
	ds_write_b32 v52, v133 offset:27904                        // 00000000A738: D81A6D00 00008534
	ds_write_b32 v52, v134 offset:21760                        // 00000000A740: D81A5500 00008634
	ds_write_b32 v52, v135 offset:28928                        // 00000000A748: D81A7100 00008734
	ds_write_b32 v52, v136 offset:22784                        // 00000000A750: D81A5900 00008834
	ds_write_b32 v52, v137 offset:29952                        // 00000000A758: D81A7500 00008934
	ds_write_b32 v52, v138 offset:23808                        // 00000000A760: D81A5D00 00008A34
	ds_write_b32 v52, v139 offset:30976                        // 00000000A768: D81A7900 00008B34
	ds_write_b32 v52, v140 offset:24832                        // 00000000A770: D81A6100 00008C34
	ds_write_b32 v52, v141 offset:32000                        // 00000000A778: D81A7D00 00008D34
	s_waitcnt lgkmcnt(0)                                       // 00000000A780: BF8CC07F
	s_barrier                                                  // 00000000A784: BF8A0000
	v_lshrrev_b32_e32 v52, 4, v0                               // 00000000A788: 20680084
	v_lshlrev_b32_e32 v53, 6, v52                              // 00000000A78C: 246A6886
	v_and_b32_e32 v52, 15, v0                                  // 00000000A790: 2668008F
	v_lshlrev_b32_e32 v52, 1, v52                              // 00000000A794: 24686881
	v_add_u32_e32 v53, v52, v53                                // 00000000A798: 686A6B34
	v_lshlrev_b32_e32 v52, 2, v53                              // 00000000A79C: 24686A82
	ds_read_b64 v[128:129], v52 offset:18688                   // 00000000A7A0: D8EC4900 80000034
	ds_read_b64 v[130:131], v52 offset:18816                   // 00000000A7A8: D8EC4980 82000034
	ds_read_b64 v[132:133], v52 offset:19712                   // 00000000A7B0: D8EC4D00 84000034
	ds_read_b64 v[134:135], v52 offset:19840                   // 00000000A7B8: D8EC4D80 86000034
	ds_read_b64 v[136:137], v52 offset:20736                   // 00000000A7C0: D8EC5100 88000034
	ds_read_b64 v[138:139], v52 offset:20864                   // 00000000A7C8: D8EC5180 8A000034
	ds_read_b64 v[140:141], v52 offset:21760                   // 00000000A7D0: D8EC5500 8C000034
	ds_read_b64 v[142:143], v52 offset:21888                   // 00000000A7D8: D8EC5580 8E000034
	ds_read_b64 v[144:145], v52 offset:22784                   // 00000000A7E0: D8EC5900 90000034
	ds_read_b64 v[146:147], v52 offset:22912                   // 00000000A7E8: D8EC5980 92000034
	ds_read_b64 v[148:149], v52 offset:23808                   // 00000000A7F0: D8EC5D00 94000034
	ds_read_b64 v[150:151], v52 offset:23936                   // 00000000A7F8: D8EC5D80 96000034
	ds_read_b64 v[152:153], v52 offset:24832                   // 00000000A800: D8EC6100 98000034
	ds_read_b64 v[154:155], v52 offset:24960                   // 00000000A808: D8EC6180 9A000034
	ds_read_b64 v[156:157], v52 offset:25856                   // 00000000A810: D8EC6500 9C000034
	ds_read_b64 v[158:159], v52 offset:25984                   // 00000000A818: D8EC6580 9E000034
	ds_read_b64 v[160:161], v52 offset:26880                   // 00000000A820: D8EC6900 A0000034
	ds_read_b64 v[162:163], v52 offset:27008                   // 00000000A828: D8EC6980 A2000034
	ds_read_b64 v[164:165], v52 offset:27904                   // 00000000A830: D8EC6D00 A4000034
	ds_read_b64 v[166:167], v52 offset:28032                   // 00000000A838: D8EC6D80 A6000034
	ds_read_b64 v[168:169], v52 offset:28928                   // 00000000A840: D8EC7100 A8000034
	ds_read_b64 v[170:171], v52 offset:29056                   // 00000000A848: D8EC7180 AA000034
	ds_read_b64 v[172:173], v52 offset:29952                   // 00000000A850: D8EC7500 AC000034
	ds_read_b64 v[174:175], v52 offset:30080                   // 00000000A858: D8EC7580 AE000034
	ds_read_b64 v[176:177], v52 offset:30976                   // 00000000A860: D8EC7900 B0000034
	ds_read_b64 v[178:179], v52 offset:31104                   // 00000000A868: D8EC7980 B2000034
	ds_read_b64 v[180:181], v52 offset:32000                   // 00000000A870: D8EC7D00 B4000034
	ds_read_b64 v[182:183], v52 offset:32128                   // 00000000A878: D8EC7D80 B6000034
	s_add_u32 s12, s56, s12                                    // 00000000A880: 800C0C38
	s_addc_u32 s13, 0, s13                                     // 00000000A884: 820D0D80
	s_add_u32 s16, s79, s16                                    // 00000000A888: 8010104F
	s_addc_u32 s17, 0, s17                                     // 00000000A88C: 82111180
	s_waitcnt lgkmcnt(0)                                       // 00000000A890: BF8CC07F
	s_barrier                                                  // 00000000A894: BF8A0000
	v_mov_b32_e32 v184, 0                                      // 00000000A898: 7F700280
	v_mov_b32_e32 v216, 0                                      // 00000000A89C: 7FB00280
	v_mov_b32_e32 v185, 0                                      // 00000000A8A0: 7F720280
	v_mov_b32_e32 v217, 0                                      // 00000000A8A4: 7FB20280
	v_mov_b32_e32 v186, 0                                      // 00000000A8A8: 7F740280
	v_mov_b32_e32 v218, 0                                      // 00000000A8AC: 7FB40280
	v_mov_b32_e32 v187, 0                                      // 00000000A8B0: 7F760280
	v_mov_b32_e32 v219, 0                                      // 00000000A8B4: 7FB60280
	v_mov_b32_e32 v188, 0                                      // 00000000A8B8: 7F780280
	v_mov_b32_e32 v220, 0                                      // 00000000A8BC: 7FB80280
	v_mov_b32_e32 v189, 0                                      // 00000000A8C0: 7F7A0280
	v_mov_b32_e32 v221, 0                                      // 00000000A8C4: 7FBA0280
	v_mov_b32_e32 v190, 0                                      // 00000000A8C8: 7F7C0280
	v_mov_b32_e32 v222, 0                                      // 00000000A8CC: 7FBC0280
	v_mov_b32_e32 v191, 0                                      // 00000000A8D0: 7F7E0280
	v_mov_b32_e32 v223, 0                                      // 00000000A8D4: 7FBE0280
	v_mov_b32_e32 v192, 0                                      // 00000000A8D8: 7F800280
	v_mov_b32_e32 v224, 0                                      // 00000000A8DC: 7FC00280
	v_mov_b32_e32 v193, 0                                      // 00000000A8E0: 7F820280
	v_mov_b32_e32 v225, 0                                      // 00000000A8E4: 7FC20280
	v_mov_b32_e32 v194, 0                                      // 00000000A8E8: 7F840280
	v_mov_b32_e32 v226, 0                                      // 00000000A8EC: 7FC40280
	v_mov_b32_e32 v195, 0                                      // 00000000A8F0: 7F860280
	v_mov_b32_e32 v227, 0                                      // 00000000A8F4: 7FC60280
	v_mov_b32_e32 v196, 0                                      // 00000000A8F8: 7F880280
	v_mov_b32_e32 v228, 0                                      // 00000000A8FC: 7FC80280
	v_mov_b32_e32 v197, 0                                      // 00000000A900: 7F8A0280
	v_mov_b32_e32 v229, 0                                      // 00000000A904: 7FCA0280
	v_mov_b32_e32 v198, 0                                      // 00000000A908: 7F8C0280
	v_mov_b32_e32 v230, 0                                      // 00000000A90C: 7FCC0280
	v_mov_b32_e32 v199, 0                                      // 00000000A910: 7F8E0280
	v_mov_b32_e32 v231, 0                                      // 00000000A914: 7FCE0280
	ds_write_b64 v3, v[184:185] offset:18688                   // 00000000A918: D89A4900 0000B803
	ds_write_b64 v3, v[186:187] offset:27392                   // 00000000A920: D89A6B00 0000BA03
	ds_write_b64 v3, v[188:189] offset:20864                   // 00000000A928: D89A5180 0000BC03
	ds_write_b64 v3, v[190:191] offset:29568                   // 00000000A930: D89A7380 0000BE03
	ds_write_b64 v3, v[192:193] offset:23040                   // 00000000A938: D89A5A00 0000C003
	ds_write_b64 v3, v[194:195] offset:31744                   // 00000000A940: D89A7C00 0000C203
	ds_write_b64 v3, v[196:197] offset:25216                   // 00000000A948: D89A6280 0000C403
	ds_write_b64 v3, v[198:199] offset:33920                   // 00000000A950: D89A8480 0000C603
	s_mov_b32 s80, 0                                           // 00000000A958: BED00080
	s_waitcnt vmcnt(0) expcnt(0) lgkmcnt(0)                    // 00000000A95C: BF8C0000

000000000000a960 <label_1ED8>:
	s_waitcnt vmcnt(25) lgkmcnt(0)                             // 00000000A960: BF8C4079
	s_barrier                                                  // 00000000A964: BF8A0000
	v_mfma_f32_16x16x32_fp8_fp8 v[184:187], a[0:1], v[128:129], 0// 00000000A968: D3F300B8 0A030100
	buffer_load_dwordx4 a[112:115], v41, s[12:15], 0 offen     // 00000000A970: E05C1000 80837029
	v_mfma_f32_16x16x32_fp8_fp8 v[184:187], a[2:3], v[130:131], v[184:187]// 00000000A978: D3F300B8 0EE30502
	ds_read_b32 v64, v4 offset:18688                           // 00000000A980: D86C4900 40000004
	ds_read_b32 v65, v4 offset:23040                           // 00000000A988: D86C5A00 41000004
	v_mfma_f32_16x16x32_fp8_fp8 v[188:191], a[0:1], v[156:157], 0// 00000000A990: D3F300BC 0A033900
	v_mfma_f32_16x16x32_fp8_fp8 v[188:191], a[2:3], v[158:159], v[188:191]// 00000000A998: D3F300BC 0EF33D02
	ds_read_b32 v66, v4 offset:18720                           // 00000000A9A0: D86C4920 42000004
	ds_read_b32 v67, v4 offset:23072                           // 00000000A9A8: D86C5A20 43000004
	v_mfma_f32_16x16x32_fp8_fp8 v[192:195], a[4:5], v[128:129], 0// 00000000A9B0: D3F300C0 0A030104
	buffer_load_dwordx4 a[116:119], v42, s[12:15], 0 offen     // 00000000A9B8: E05C1000 8083742A
	v_mfma_f32_16x16x32_fp8_fp8 v[192:195], a[6:7], v[130:131], v[192:195]// 00000000A9C0: D3F300C0 0F030506
	ds_read_b32 v68, v4 offset:18752                           // 00000000A9C8: D86C4940 44000004
	ds_read_b32 v69, v4 offset:23104                           // 00000000A9D0: D86C5A40 45000004
	v_mfma_f32_16x16x32_fp8_fp8 v[196:199], a[4:5], v[156:157], 0// 00000000A9D8: D3F300C4 0A033904
	v_mfma_f32_16x16x32_fp8_fp8 v[196:199], a[6:7], v[158:159], v[196:199]// 00000000A9E0: D3F300C4 0F133D06
	ds_read_b32 v70, v4 offset:18784                           // 00000000A9E8: D86C4960 46000004
	ds_read_b32 v71, v4 offset:23136                           // 00000000A9F0: D86C5A60 47000004
	v_mfma_f32_16x16x32_fp8_fp8 v[200:203], a[8:9], v[128:129], 0// 00000000A9F8: D3F300C8 0A030108
	buffer_load_dwordx4 a[120:123], v43, s[12:15], 0 offen     // 00000000AA00: E05C1000 8083782B
	v_mfma_f32_16x16x32_fp8_fp8 v[200:203], a[10:11], v[130:131], v[200:203]// 00000000AA08: D3F300C8 0F23050A
	ds_read_b32 v72, v4 offset:27392                           // 00000000AA10: D86C6B00 48000004
	ds_read_b32 v73, v4 offset:31744                           // 00000000AA18: D86C7C00 49000004
	v_mfma_f32_16x16x32_fp8_fp8 v[204:207], a[8:9], v[156:157], 0// 00000000AA20: D3F300CC 0A033908
	v_mfma_f32_16x16x32_fp8_fp8 v[204:207], a[10:11], v[158:159], v[204:207]// 00000000AA28: D3F300CC 0F333D0A
	ds_read_b32 v74, v4 offset:27424                           // 00000000AA30: D86C6B20 4A000004
	ds_read_b32 v75, v4 offset:31776                           // 00000000AA38: D86C7C20 4B000004
	v_mfma_f32_16x16x32_fp8_fp8 v[208:211], a[12:13], v[128:129], 0// 00000000AA40: D3F300D0 0A03010C
	buffer_load_dwordx4 a[124:127], v44, s[12:15], 0 offen     // 00000000AA48: E05C1000 80837C2C
	s_add_u32 s12, s78, s12                                    // 00000000AA50: 800C0C4E
	s_addc_u32 s13, 0, s13                                     // 00000000AA54: 820D0D80
	v_mfma_f32_16x16x32_fp8_fp8 v[208:211], a[14:15], v[130:131], v[208:211]// 00000000AA58: D3F300D0 0F43050E
	ds_read_b32 v76, v4 offset:27456                           // 00000000AA60: D86C6B40 4C000004
	ds_read_b32 v77, v4 offset:31808                           // 00000000AA68: D86C7C40 4D000004
	v_mfma_f32_16x16x32_fp8_fp8 v[212:215], a[12:13], v[156:157], 0// 00000000AA70: D3F300D4 0A03390C
	v_mfma_f32_16x16x32_fp8_fp8 v[212:215], a[14:15], v[158:159], v[212:215]// 00000000AA78: D3F300D4 0F533D0E
	ds_read_b32 v78, v4 offset:27488                           // 00000000AA80: D86C6B60 4E000004
	ds_read_b32 v79, v4 offset:31840                           // 00000000AA88: D86C7C60 4F000004
	s_waitcnt vmcnt(25)                                        // 00000000AA90: BF8C4F79
	v_mfma_f32_16x16x32_fp8_fp8 v[184:187], a[16:17], v[132:133], v[184:187]// 00000000AA94: D3F300B8 0EE30910
	buffer_load_dwordx4 a[128:131], v41, s[12:15], 0 offen     // 00000000AA9C: E05C1000 80838029
	v_mfma_f32_16x16x32_fp8_fp8 v[184:187], a[18:19], v[134:135], v[184:187]// 00000000AAA4: D3F300B8 0EE30D12
	v_mfma_f32_16x16x32_fp8_fp8 v[188:191], a[16:17], v[160:161], v[188:191]// 00000000AAAC: D3F300BC 0EF34110
	v_mfma_f32_16x16x32_fp8_fp8 v[188:191], a[18:19], v[162:163], v[188:191]// 00000000AAB4: D3F300BC 0EF34512
	v_mfma_f32_16x16x32_fp8_fp8 v[192:195], a[20:21], v[132:133], v[192:195]// 00000000AABC: D3F300C0 0F030914
	buffer_load_dwordx4 a[132:135], v42, s[12:15], 0 offen     // 00000000AAC4: E05C1000 8083842A
	v_mfma_f32_16x16x32_fp8_fp8 v[192:195], a[22:23], v[134:135], v[192:195]// 00000000AACC: D3F300C0 0F030D16
	v_mfma_f32_16x16x32_fp8_fp8 v[196:199], a[20:21], v[160:161], v[196:199]// 00000000AAD4: D3F300C4 0F134114
	v_mfma_f32_16x16x32_fp8_fp8 v[196:199], a[22:23], v[162:163], v[196:199]// 00000000AADC: D3F300C4 0F134516
	v_mfma_f32_16x16x32_fp8_fp8 v[200:203], a[24:25], v[132:133], v[200:203]// 00000000AAE4: D3F300C8 0F230918
	buffer_load_dwordx4 a[136:139], v43, s[12:15], 0 offen     // 00000000AAEC: E05C1000 8083882B
	v_mfma_f32_16x16x32_fp8_fp8 v[200:203], a[26:27], v[134:135], v[200:203]// 00000000AAF4: D3F300C8 0F230D1A
	v_mfma_f32_16x16x32_fp8_fp8 v[204:207], a[24:25], v[160:161], v[204:207]// 00000000AAFC: D3F300CC 0F334118
	v_mfma_f32_16x16x32_fp8_fp8 v[204:207], a[26:27], v[162:163], v[204:207]// 00000000AB04: D3F300CC 0F33451A
	v_mfma_f32_16x16x32_fp8_fp8 v[208:211], a[28:29], v[132:133], v[208:211]// 00000000AB0C: D3F300D0 0F43091C
	buffer_load_dwordx4 a[140:143], v44, s[12:15], 0 offen     // 00000000AB14: E05C1000 80838C2C
	s_add_u32 s12, s78, s12                                    // 00000000AB1C: 800C0C4E
	s_addc_u32 s13, 0, s13                                     // 00000000AB20: 820D0D80
	v_mfma_f32_16x16x32_fp8_fp8 v[208:211], a[30:31], v[134:135], v[208:211]// 00000000AB24: D3F300D0 0F430D1E
	v_mfma_f32_16x16x32_fp8_fp8 v[212:215], a[28:29], v[160:161], v[212:215]// 00000000AB2C: D3F300D4 0F53411C
	v_mfma_f32_16x16x32_fp8_fp8 v[212:215], a[30:31], v[162:163], v[212:215]// 00000000AB34: D3F300D4 0F53451E
	s_waitcnt vmcnt(25)                                        // 00000000AB3C: BF8C4F79
	v_mfma_f32_16x16x32_fp8_fp8 v[184:187], a[32:33], v[136:137], v[184:187]// 00000000AB40: D3F300B8 0EE31120
	buffer_load_dwordx4 a[144:147], v41, s[12:15], 0 offen     // 00000000AB48: E05C1000 80839029
	v_mfma_f32_16x16x32_fp8_fp8 v[184:187], a[34:35], v[138:139], v[184:187]// 00000000AB50: D3F300B8 0EE31522
	ds_write_b64 v3, v[216:217] offset:36096                   // 00000000AB58: D89A8D00 0000D803
	v_mfma_f32_16x16x32_fp8_fp8 v[188:191], a[32:33], v[164:165], v[188:191]// 00000000AB60: D3F300BC 0EF34920
	v_mfma_f32_16x16x32_fp8_fp8 v[188:191], a[34:35], v[166:167], v[188:191]// 00000000AB68: D3F300BC 0EF34D22
	ds_write_b64 v3, v[218:219] offset:44800                   // 00000000AB70: D89AAF00 0000DA03
	v_mfma_f32_16x16x32_fp8_fp8 v[192:195], a[36:37], v[136:137], v[192:195]// 00000000AB78: D3F300C0 0F031124
	buffer_load_dwordx4 a[148:151], v42, s[12:15], 0 offen     // 00000000AB80: E05C1000 8083942A
	v_mfma_f32_16x16x32_fp8_fp8 v[192:195], a[38:39], v[138:139], v[192:195]// 00000000AB88: D3F300C0 0F031526
	ds_write_b64 v3, v[220:221] offset:38272                   // 00000000AB90: D89A9580 0000DC03
	v_mfma_f32_16x16x32_fp8_fp8 v[196:199], a[36:37], v[164:165], v[196:199]// 00000000AB98: D3F300C4 0F134924
	v_mfma_f32_16x16x32_fp8_fp8 v[196:199], a[38:39], v[166:167], v[196:199]// 00000000ABA0: D3F300C4 0F134D26
	ds_write_b64 v3, v[222:223] offset:46976                   // 00000000ABA8: D89AB780 0000DE03
	v_mfma_f32_16x16x32_fp8_fp8 v[200:203], a[40:41], v[136:137], v[200:203]// 00000000ABB0: D3F300C8 0F231128
	buffer_load_dwordx4 a[152:155], v43, s[12:15], 0 offen     // 00000000ABB8: E05C1000 8083982B
	v_mfma_f32_16x16x32_fp8_fp8 v[200:203], a[42:43], v[138:139], v[200:203]// 00000000ABC0: D3F300C8 0F23152A
	ds_write_b64 v3, v[224:225] offset:40448                   // 00000000ABC8: D89A9E00 0000E003
	v_mfma_f32_16x16x32_fp8_fp8 v[204:207], a[40:41], v[164:165], v[204:207]// 00000000ABD0: D3F300CC 0F334928
	v_mfma_f32_16x16x32_fp8_fp8 v[204:207], a[42:43], v[166:167], v[204:207]// 00000000ABD8: D3F300CC 0F334D2A
	ds_write_b64 v3, v[226:227] offset:49152                   // 00000000ABE0: D89AC000 0000E203
	v_mfma_f32_16x16x32_fp8_fp8 v[208:211], a[44:45], v[136:137], v[208:211]// 00000000ABE8: D3F300D0 0F43112C
	buffer_load_dwordx4 a[156:159], v44, s[12:15], 0 offen     // 00000000ABF0: E05C1000 80839C2C
	s_add_u32 s12, s78, s12                                    // 00000000ABF8: 800C0C4E
	s_addc_u32 s13, 0, s13                                     // 00000000ABFC: 820D0D80
	v_mfma_f32_16x16x32_fp8_fp8 v[208:211], a[46:47], v[138:139], v[208:211]// 00000000AC00: D3F300D0 0F43152E
	ds_write_b64 v3, v[228:229] offset:42624                   // 00000000AC08: D89AA680 0000E403
	v_mfma_f32_16x16x32_fp8_fp8 v[212:215], a[44:45], v[164:165], v[212:215]// 00000000AC10: D3F300D4 0F53492C
	v_mfma_f32_16x16x32_fp8_fp8 v[212:215], a[46:47], v[166:167], v[212:215]// 00000000AC18: D3F300D4 0F534D2E
	ds_write_b64 v3, v[230:231] offset:51328                   // 00000000AC20: D89AC880 0000E603
	s_waitcnt vmcnt(25)                                        // 00000000AC28: BF8C4F79
	v_mfma_f32_16x16x32_fp8_fp8 v[184:187], a[48:49], v[140:141], v[184:187]// 00000000AC2C: D3F300B8 0EE31930
	buffer_load_dwordx4 a[160:163], v41, s[12:15], 0 offen     // 00000000AC34: E05C1000 8083A029
	v_mfma_f32_16x16x32_fp8_fp8 v[184:187], a[50:51], v[142:143], v[184:187]// 00000000AC3C: D3F300B8 0EE31D32
	v_mfma_f32_16x16x32_fp8_fp8 v[188:191], a[48:49], v[168:169], v[188:191]// 00000000AC44: D3F300BC 0EF35130
	v_mfma_f32_16x16x32_fp8_fp8 v[188:191], a[50:51], v[170:171], v[188:191]// 00000000AC4C: D3F300BC 0EF35532
	v_mfma_f32_16x16x32_fp8_fp8 v[192:195], a[52:53], v[140:141], v[192:195]// 00000000AC54: D3F300C0 0F031934
	buffer_load_dwordx4 a[164:167], v42, s[12:15], 0 offen     // 00000000AC5C: E05C1000 8083A42A
	v_mfma_f32_16x16x32_fp8_fp8 v[192:195], a[54:55], v[142:143], v[192:195]// 00000000AC64: D3F300C0 0F031D36
	v_mfma_f32_16x16x32_fp8_fp8 v[196:199], a[52:53], v[168:169], v[196:199]// 00000000AC6C: D3F300C4 0F135134
	v_mfma_f32_16x16x32_fp8_fp8 v[196:199], a[54:55], v[170:171], v[196:199]// 00000000AC74: D3F300C4 0F135536
	v_mfma_f32_16x16x32_fp8_fp8 v[200:203], a[56:57], v[140:141], v[200:203]// 00000000AC7C: D3F300C8 0F231938
	buffer_load_dwordx4 a[168:171], v43, s[12:15], 0 offen     // 00000000AC84: E05C1000 8083A82B
	v_mfma_f32_16x16x32_fp8_fp8 v[200:203], a[58:59], v[142:143], v[200:203]// 00000000AC8C: D3F300C8 0F231D3A
	v_mfma_f32_16x16x32_fp8_fp8 v[204:207], a[56:57], v[168:169], v[204:207]// 00000000AC94: D3F300CC 0F335138
	v_mfma_f32_16x16x32_fp8_fp8 v[204:207], a[58:59], v[170:171], v[204:207]// 00000000AC9C: D3F300CC 0F33553A
	v_mfma_f32_16x16x32_fp8_fp8 v[208:211], a[60:61], v[140:141], v[208:211]// 00000000ACA4: D3F300D0 0F43193C
	buffer_load_dwordx4 a[172:175], v44, s[12:15], 0 offen     // 00000000ACAC: E05C1000 8083AC2C
	s_add_u32 s12, s78, s12                                    // 00000000ACB4: 800C0C4E
	s_addc_u32 s13, 0, s13                                     // 00000000ACB8: 820D0D80
	v_mfma_f32_16x16x32_fp8_fp8 v[208:211], a[62:63], v[142:143], v[208:211]// 00000000ACBC: D3F300D0 0F431D3E
	v_mfma_f32_16x16x32_fp8_fp8 v[212:215], a[60:61], v[168:169], v[212:215]// 00000000ACC4: D3F300D4 0F53513C
	v_mfma_f32_16x16x32_fp8_fp8 v[212:215], a[62:63], v[170:171], v[212:215]// 00000000ACCC: D3F300D4 0F53553E
	s_waitcnt vmcnt(25)                                        // 00000000ACD4: BF8C4F79
	v_mfma_f32_16x16x32_fp8_fp8 v[184:187], a[64:65], v[144:145], v[184:187]// 00000000ACD8: D3F300B8 0EE32140
	buffer_load_dwordx4 a[176:179], v41, s[12:15], 0 offen     // 00000000ACE0: E05C1000 8083B029
	v_mfma_f32_16x16x32_fp8_fp8 v[184:187], a[66:67], v[146:147], v[184:187]// 00000000ACE8: D3F300B8 0EE32542
	v_mfma_f32_16x16x32_fp8_fp8 v[188:191], a[64:65], v[172:173], v[188:191]// 00000000ACF0: D3F300BC 0EF35940
	v_mfma_f32_16x16x32_fp8_fp8 v[188:191], a[66:67], v[174:175], v[188:191]// 00000000ACF8: D3F300BC 0EF35D42
	v_mfma_f32_16x16x32_fp8_fp8 v[192:195], a[68:69], v[144:145], v[192:195]// 00000000AD00: D3F300C0 0F032144
	buffer_load_dwordx4 a[180:183], v42, s[12:15], 0 offen     // 00000000AD08: E05C1000 8083B42A
	v_mfma_f32_16x16x32_fp8_fp8 v[192:195], a[70:71], v[146:147], v[192:195]// 00000000AD10: D3F300C0 0F032546
	v_mfma_f32_16x16x32_fp8_fp8 v[196:199], a[68:69], v[172:173], v[196:199]// 00000000AD18: D3F300C4 0F135944
	v_mfma_f32_16x16x32_fp8_fp8 v[196:199], a[70:71], v[174:175], v[196:199]// 00000000AD20: D3F300C4 0F135D46
	v_mfma_f32_16x16x32_fp8_fp8 v[200:203], a[72:73], v[144:145], v[200:203]// 00000000AD28: D3F300C8 0F232148
	buffer_load_dwordx4 a[184:187], v43, s[12:15], 0 offen     // 00000000AD30: E05C1000 8083B82B
	v_mfma_f32_16x16x32_fp8_fp8 v[200:203], a[74:75], v[146:147], v[200:203]// 00000000AD38: D3F300C8 0F23254A
	v_mfma_f32_16x16x32_fp8_fp8 v[204:207], a[72:73], v[172:173], v[204:207]// 00000000AD40: D3F300CC 0F335948
	v_mfma_f32_16x16x32_fp8_fp8 v[204:207], a[74:75], v[174:175], v[204:207]// 00000000AD48: D3F300CC 0F335D4A
	v_mfma_f32_16x16x32_fp8_fp8 v[208:211], a[76:77], v[144:145], v[208:211]// 00000000AD50: D3F300D0 0F43214C
	buffer_load_dwordx4 a[188:191], v44, s[12:15], 0 offen     // 00000000AD58: E05C1000 8083BC2C
	s_add_u32 s12, s78, s12                                    // 00000000AD60: 800C0C4E
	s_addc_u32 s13, 0, s13                                     // 00000000AD64: 820D0D80
	v_mfma_f32_16x16x32_fp8_fp8 v[208:211], a[78:79], v[146:147], v[208:211]// 00000000AD68: D3F300D0 0F43254E
	v_mfma_f32_16x16x32_fp8_fp8 v[212:215], a[76:77], v[172:173], v[212:215]// 00000000AD70: D3F300D4 0F53594C
	v_mfma_f32_16x16x32_fp8_fp8 v[212:215], a[78:79], v[174:175], v[212:215]// 00000000AD78: D3F300D4 0F535D4E
	s_waitcnt vmcnt(25)                                        // 00000000AD80: BF8C4F79
	v_mfma_f32_16x16x32_fp8_fp8 v[184:187], a[80:81], v[148:149], v[184:187]// 00000000AD84: D3F300B8 0EE32950
	buffer_load_dwordx4 a[192:195], v41, s[12:15], 0 offen     // 00000000AD8C: E05C1000 8083C029
	v_mfma_f32_16x16x32_fp8_fp8 v[184:187], a[82:83], v[150:151], v[184:187]// 00000000AD94: D3F300B8 0EE32D52
	v_mfma_f32_16x16x32_fp8_fp8 v[188:191], a[80:81], v[176:177], v[188:191]// 00000000AD9C: D3F300BC 0EF36150
	v_mfma_f32_16x16x32_fp8_fp8 v[188:191], a[82:83], v[178:179], v[188:191]// 00000000ADA4: D3F300BC 0EF36552
	v_mfma_f32_16x16x32_fp8_fp8 v[192:195], a[84:85], v[148:149], v[192:195]// 00000000ADAC: D3F300C0 0F032954
	buffer_load_dwordx4 a[196:199], v42, s[12:15], 0 offen     // 00000000ADB4: E05C1000 8083C42A
	v_mfma_f32_16x16x32_fp8_fp8 v[192:195], a[86:87], v[150:151], v[192:195]// 00000000ADBC: D3F300C0 0F032D56
	v_mfma_f32_16x16x32_fp8_fp8 v[196:199], a[84:85], v[176:177], v[196:199]// 00000000ADC4: D3F300C4 0F136154
	v_mfma_f32_16x16x32_fp8_fp8 v[196:199], a[86:87], v[178:179], v[196:199]// 00000000ADCC: D3F300C4 0F136556
	v_mfma_f32_16x16x32_fp8_fp8 v[200:203], a[88:89], v[148:149], v[200:203]// 00000000ADD4: D3F300C8 0F232958
	buffer_load_dwordx4 a[200:203], v43, s[12:15], 0 offen     // 00000000ADDC: E05C1000 8083C82B
	v_mfma_f32_16x16x32_fp8_fp8 v[200:203], a[90:91], v[150:151], v[200:203]// 00000000ADE4: D3F300C8 0F232D5A
	v_mfma_f32_16x16x32_fp8_fp8 v[204:207], a[88:89], v[176:177], v[204:207]// 00000000ADEC: D3F300CC 0F336158
	v_mfma_f32_16x16x32_fp8_fp8 v[204:207], a[90:91], v[178:179], v[204:207]// 00000000ADF4: D3F300CC 0F33655A
	v_mfma_f32_16x16x32_fp8_fp8 v[208:211], a[92:93], v[148:149], v[208:211]// 00000000ADFC: D3F300D0 0F43295C
	buffer_load_dwordx4 a[204:207], v44, s[12:15], 0 offen     // 00000000AE04: E05C1000 8083CC2C
	s_add_u32 s12, s78, s12                                    // 00000000AE0C: 800C0C4E
	s_addc_u32 s13, 0, s13                                     // 00000000AE10: 820D0D80
	v_mfma_f32_16x16x32_fp8_fp8 v[208:211], a[94:95], v[150:151], v[208:211]// 00000000AE14: D3F300D0 0F432D5E
	v_mfma_f32_16x16x32_fp8_fp8 v[212:215], a[92:93], v[176:177], v[212:215]// 00000000AE1C: D3F300D4 0F53615C
	v_mfma_f32_16x16x32_fp8_fp8 v[212:215], a[94:95], v[178:179], v[212:215]// 00000000AE24: D3F300D4 0F53655E
	s_waitcnt vmcnt(24)                                        // 00000000AE2C: BF8C4F78
	v_mfma_f32_16x16x32_fp8_fp8 v[184:187], a[96:97], v[152:153], v[184:187]// 00000000AE30: D3F300B8 0EE33160
	buffer_load_dwordx4 a[208:211], v41, s[12:15], 0 offen     // 00000000AE38: E05C1000 8083D029
	v_mfma_f32_16x16x32_fp8_fp8 v[184:187], a[98:99], v[154:155], v[184:187]// 00000000AE40: D3F300B8 0EE33562
	v_mfma_f32_16x16x32_fp8_fp8 v[188:191], a[96:97], v[180:181], v[188:191]// 00000000AE48: D3F300BC 0EF36960
	buffer_load_dword v13, v5, s[16:19], 0 offen               // 00000000AE50: E0501000 80040D05
	v_mfma_f32_16x16x32_fp8_fp8 v[188:191], a[98:99], v[182:183], v[188:191]// 00000000AE58: D3F300BC 0EF36D62
	v_mfma_f32_16x16x32_fp8_fp8 v[192:195], a[100:101], v[152:153], v[192:195]// 00000000AE60: D3F300C0 0F033164
	buffer_load_dwordx4 a[212:215], v42, s[12:15], 0 offen     // 00000000AE68: E05C1000 8083D42A
	v_mfma_f32_16x16x32_fp8_fp8 v[192:195], a[102:103], v[154:155], v[192:195]// 00000000AE70: D3F300C0 0F033566
	v_mfma_f32_16x16x32_fp8_fp8 v[196:199], a[100:101], v[180:181], v[196:199]// 00000000AE78: D3F300C4 0F136964
	v_mfma_f32_16x16x32_fp8_fp8 v[196:199], a[102:103], v[182:183], v[196:199]// 00000000AE80: D3F300C4 0F136D66
	v_mfma_f32_16x16x32_fp8_fp8 v[200:203], a[104:105], v[152:153], v[200:203]// 00000000AE88: D3F300C8 0F233168
	buffer_load_dwordx4 a[216:219], v43, s[12:15], 0 offen     // 00000000AE90: E05C1000 8083D82B
	v_mfma_f32_16x16x32_fp8_fp8 v[200:203], a[106:107], v[154:155], v[200:203]// 00000000AE98: D3F300C8 0F23356A
	v_mfma_f32_16x16x32_fp8_fp8 v[204:207], a[104:105], v[180:181], v[204:207]// 00000000AEA0: D3F300CC 0F336968
	v_mfma_f32_16x16x32_fp8_fp8 v[204:207], a[106:107], v[182:183], v[204:207]// 00000000AEA8: D3F300CC 0F336D6A
	v_mfma_f32_16x16x32_fp8_fp8 v[208:211], a[108:109], v[152:153], v[208:211]// 00000000AEB0: D3F300D0 0F43316C
	buffer_load_dwordx4 a[220:223], v44, s[12:15], 0 offen     // 00000000AEB8: E05C1000 8083DC2C
	v_mfma_f32_16x16x32_fp8_fp8 v[208:211], a[110:111], v[154:155], v[208:211]// 00000000AEC0: D3F300D0 0F43356E
	v_mfma_f32_16x16x32_fp8_fp8 v[212:215], a[108:109], v[180:181], v[212:215]// 00000000AEC8: D3F300D4 0F53696C
	v_mfma_f32_16x16x32_fp8_fp8 v[212:215], a[110:111], v[182:183], v[212:215]// 00000000AED0: D3F300D4 0F536D6E
	s_add_u32 s60, 0x200, s80                                  // 00000000AED8: 803C50FF 00000200
	s_cmp_lt_u32 s60, s81                                      // 00000000AEE0: BF0A513C
	s_cselect_b32 s56, s56, 0                                  // 00000000AEE4: 85388038
	s_cselect_b32 s78, s78, 0                                  // 00000000AEE8: 854E804E
	s_cselect_b32 s79, s79, 0                                  // 00000000AEEC: 854F804F
	s_add_u32 s12, s56, s12                                    // 00000000AEF0: 800C0C38
	s_addc_u32 s13, 0, s13                                     // 00000000AEF4: 820D0D80
	s_add_u32 s16, s79, s16                                    // 00000000AEF8: 8010104F
	s_addc_u32 s17, 0, s17                                     // 00000000AEFC: 82111180
	v_mul_f32_e32 v184, v24, v184                              // 00000000AF00: 0B717118
	v_mul_f32_e32 v185, v24, v185                              // 00000000AF04: 0B737318
	v_mul_f32_e32 v186, v24, v186                              // 00000000AF08: 0B757518
	v_mul_f32_e32 v187, v24, v187                              // 00000000AF0C: 0B777718
	v_mul_f32_dpp v184, v12, v184 row_newbcast:0 row_mask:0xf bank_mask:0xf// 00000000AF10: 0B7170FA FF01500C
	v_mul_f32_dpp v185, v12, v185 row_newbcast:1 row_mask:0xf bank_mask:0xf// 00000000AF18: 0B7372FA FF01510C
	v_mul_f32_dpp v186, v12, v186 row_newbcast:2 row_mask:0xf bank_mask:0xf// 00000000AF20: 0B7574FA FF01520C
	v_mul_f32_dpp v187, v12, v187 row_newbcast:3 row_mask:0xf bank_mask:0xf// 00000000AF28: 0B7776FA FF01530C
	v_mul_f32_e32 v184, v20, v184                              // 00000000AF30: 0B717114
	v_mul_f32_e32 v185, v20, v185                              // 00000000AF34: 0B737314
	v_mul_f32_e32 v186, v20, v186                              // 00000000AF38: 0B757514
	v_mul_f32_e32 v187, v20, v187                              // 00000000AF3C: 0B777714
	v_mul_f32_e32 v188, v25, v188                              // 00000000AF40: 0B797919
	v_mul_f32_e32 v189, v25, v189                              // 00000000AF44: 0B7B7B19
	v_mul_f32_e32 v190, v25, v190                              // 00000000AF48: 0B7D7D19
	v_mul_f32_e32 v191, v25, v191                              // 00000000AF4C: 0B7F7F19
	v_mul_f32_dpp v188, v12, v188 row_newbcast:0 row_mask:0xf bank_mask:0xf// 00000000AF50: 0B7978FA FF01500C
	v_mul_f32_dpp v189, v12, v189 row_newbcast:1 row_mask:0xf bank_mask:0xf// 00000000AF58: 0B7B7AFA FF01510C
	v_mul_f32_dpp v190, v12, v190 row_newbcast:2 row_mask:0xf bank_mask:0xf// 00000000AF60: 0B7D7CFA FF01520C
	v_mul_f32_dpp v191, v12, v191 row_newbcast:3 row_mask:0xf bank_mask:0xf// 00000000AF68: 0B7F7EFA FF01530C
	v_mul_f32_e32 v188, v21, v188                              // 00000000AF70: 0B797915
	v_mul_f32_e32 v189, v21, v189                              // 00000000AF74: 0B7B7B15
	v_mul_f32_e32 v190, v21, v190                              // 00000000AF78: 0B7D7D15
	v_mul_f32_e32 v191, v21, v191                              // 00000000AF7C: 0B7F7F15
	v_mul_f32_e32 v192, v24, v192                              // 00000000AF80: 0B818118
	v_mul_f32_e32 v193, v24, v193                              // 00000000AF84: 0B838318
	v_mul_f32_e32 v194, v24, v194                              // 00000000AF88: 0B858518
	v_mul_f32_e32 v195, v24, v195                              // 00000000AF8C: 0B878718
	v_mul_f32_dpp v192, v12, v192 row_newbcast:4 row_mask:0xf bank_mask:0xf// 00000000AF90: 0B8180FA FF01540C
	v_mul_f32_dpp v193, v12, v193 row_newbcast:5 row_mask:0xf bank_mask:0xf// 00000000AF98: 0B8382FA FF01550C
	v_mul_f32_dpp v194, v12, v194 row_newbcast:6 row_mask:0xf bank_mask:0xf// 00000000AFA0: 0B8584FA FF01560C
	v_mul_f32_dpp v195, v12, v195 row_newbcast:7 row_mask:0xf bank_mask:0xf// 00000000AFA8: 0B8786FA FF01570C
	v_mul_f32_e32 v192, v20, v192                              // 00000000AFB0: 0B818114
	v_mul_f32_e32 v193, v20, v193                              // 00000000AFB4: 0B838314
	v_mul_f32_e32 v194, v20, v194                              // 00000000AFB8: 0B858514
	v_mul_f32_e32 v195, v20, v195                              // 00000000AFBC: 0B878714
	v_mul_f32_e32 v196, v25, v196                              // 00000000AFC0: 0B898919
	v_mul_f32_e32 v197, v25, v197                              // 00000000AFC4: 0B8B8B19
	v_mul_f32_e32 v198, v25, v198                              // 00000000AFC8: 0B8D8D19
	v_mul_f32_e32 v199, v25, v199                              // 00000000AFCC: 0B8F8F19
	v_mul_f32_dpp v196, v12, v196 row_newbcast:4 row_mask:0xf bank_mask:0xf// 00000000AFD0: 0B8988FA FF01540C
	v_mul_f32_dpp v197, v12, v197 row_newbcast:5 row_mask:0xf bank_mask:0xf// 00000000AFD8: 0B8B8AFA FF01550C
	v_mul_f32_dpp v198, v12, v198 row_newbcast:6 row_mask:0xf bank_mask:0xf// 00000000AFE0: 0B8D8CFA FF01560C
	v_mul_f32_dpp v199, v12, v199 row_newbcast:7 row_mask:0xf bank_mask:0xf// 00000000AFE8: 0B8F8EFA FF01570C
	v_mul_f32_e32 v196, v21, v196                              // 00000000AFF0: 0B898915
	v_mul_f32_e32 v197, v21, v197                              // 00000000AFF4: 0B8B8B15
	v_mul_f32_e32 v198, v21, v198                              // 00000000AFF8: 0B8D8D15
	v_mul_f32_e32 v199, v21, v199                              // 00000000AFFC: 0B8F8F15
	v_mul_f32_e32 v200, v24, v200                              // 00000000B000: 0B919118
	v_mul_f32_e32 v201, v24, v201                              // 00000000B004: 0B939318
	v_mul_f32_e32 v202, v24, v202                              // 00000000B008: 0B959518
	v_mul_f32_e32 v203, v24, v203                              // 00000000B00C: 0B979718
	v_mul_f32_dpp v200, v12, v200 row_newbcast:8 row_mask:0xf bank_mask:0xf// 00000000B010: 0B9190FA FF01580C
	v_mul_f32_dpp v201, v12, v201 row_newbcast:9 row_mask:0xf bank_mask:0xf// 00000000B018: 0B9392FA FF01590C
	v_mul_f32_dpp v202, v12, v202 row_newbcast:10 row_mask:0xf bank_mask:0xf// 00000000B020: 0B9594FA FF015A0C
	v_mul_f32_dpp v203, v12, v203 row_newbcast:11 row_mask:0xf bank_mask:0xf// 00000000B028: 0B9796FA FF015B0C
	v_mul_f32_e32 v200, v20, v200                              // 00000000B030: 0B919114
	v_mul_f32_e32 v201, v20, v201                              // 00000000B034: 0B939314
	v_mul_f32_e32 v202, v20, v202                              // 00000000B038: 0B959514
	v_mul_f32_e32 v203, v20, v203                              // 00000000B03C: 0B979714
	v_mul_f32_e32 v204, v25, v204                              // 00000000B040: 0B999919
	v_mul_f32_e32 v205, v25, v205                              // 00000000B044: 0B9B9B19
	v_mul_f32_e32 v206, v25, v206                              // 00000000B048: 0B9D9D19
	v_mul_f32_e32 v207, v25, v207                              // 00000000B04C: 0B9F9F19
	v_mul_f32_dpp v204, v12, v204 row_newbcast:8 row_mask:0xf bank_mask:0xf// 00000000B050: 0B9998FA FF01580C
	v_mul_f32_dpp v205, v12, v205 row_newbcast:9 row_mask:0xf bank_mask:0xf// 00000000B058: 0B9B9AFA FF01590C
	v_mul_f32_dpp v206, v12, v206 row_newbcast:10 row_mask:0xf bank_mask:0xf// 00000000B060: 0B9D9CFA FF015A0C
	v_mul_f32_dpp v207, v12, v207 row_newbcast:11 row_mask:0xf bank_mask:0xf// 00000000B068: 0B9F9EFA FF015B0C
	v_mul_f32_e32 v204, v21, v204                              // 00000000B070: 0B999915
	v_mul_f32_e32 v205, v21, v205                              // 00000000B074: 0B9B9B15
	v_mul_f32_e32 v206, v21, v206                              // 00000000B078: 0B9D9D15
	v_mul_f32_e32 v207, v21, v207                              // 00000000B07C: 0B9F9F15
	v_mul_f32_e32 v208, v24, v208                              // 00000000B080: 0BA1A118
	v_mul_f32_e32 v209, v24, v209                              // 00000000B084: 0BA3A318
	v_mul_f32_e32 v210, v24, v210                              // 00000000B088: 0BA5A518
	v_mul_f32_e32 v211, v24, v211                              // 00000000B08C: 0BA7A718
	v_mul_f32_dpp v208, v12, v208 row_newbcast:12 row_mask:0xf bank_mask:0xf// 00000000B090: 0BA1A0FA FF015C0C
	v_mul_f32_dpp v209, v12, v209 row_newbcast:13 row_mask:0xf bank_mask:0xf// 00000000B098: 0BA3A2FA FF015D0C
	v_mul_f32_dpp v210, v12, v210 row_newbcast:14 row_mask:0xf bank_mask:0xf// 00000000B0A0: 0BA5A4FA FF015E0C
	v_mul_f32_dpp v211, v12, v211 row_newbcast:15 row_mask:0xf bank_mask:0xf// 00000000B0A8: 0BA7A6FA FF015F0C
	v_mul_f32_e32 v208, v20, v208                              // 00000000B0B0: 0BA1A114
	v_mul_f32_e32 v209, v20, v209                              // 00000000B0B4: 0BA3A314
	v_mul_f32_e32 v210, v20, v210                              // 00000000B0B8: 0BA5A514
	v_mul_f32_e32 v211, v20, v211                              // 00000000B0BC: 0BA7A714
	v_mul_f32_e32 v212, v25, v212                              // 00000000B0C0: 0BA9A919
	v_mul_f32_e32 v213, v25, v213                              // 00000000B0C4: 0BABAB19
	v_mul_f32_e32 v214, v25, v214                              // 00000000B0C8: 0BADAD19
	v_mul_f32_e32 v215, v25, v215                              // 00000000B0CC: 0BAFAF19
	v_mul_f32_dpp v212, v12, v212 row_newbcast:12 row_mask:0xf bank_mask:0xf// 00000000B0D0: 0BA9A8FA FF015C0C
	v_mul_f32_dpp v213, v12, v213 row_newbcast:13 row_mask:0xf bank_mask:0xf// 00000000B0D8: 0BABAAFA FF015D0C
	v_mul_f32_dpp v214, v12, v214 row_newbcast:14 row_mask:0xf bank_mask:0xf// 00000000B0E0: 0BADACFA FF015E0C
	v_mul_f32_dpp v215, v12, v215 row_newbcast:15 row_mask:0xf bank_mask:0xf// 00000000B0E8: 0BAFAEFA FF015F0C
	v_mul_f32_e32 v212, v21, v212                              // 00000000B0F0: 0BA9A915
	v_mul_f32_e32 v213, v21, v213                              // 00000000B0F4: 0BABAB15
	v_mul_f32_e32 v214, v21, v214                              // 00000000B0F8: 0BADAD15
	v_mul_f32_e32 v215, v21, v215                              // 00000000B0FC: 0BAFAF15
	v_cmp_u_f32_e64 s[48:49], v184, v184                       // 00000000B100: D0480030 000371B8
	v_add3_u32 v45, v184, v48, 1                               // 00000000B108: D1FF002D 020661B8
	v_cndmask_b32_e64 v52, v45, v47, s[48:49]                  // 00000000B110: D1000034 00C25F2D
	v_cmp_u_f32_e64 s[48:49], v185, v185                       // 00000000B118: D0480030 000373B9
	v_add3_u32 v45, v185, v48, 1                               // 00000000B120: D1FF002D 020661B9
	v_cndmask_b32_e64 v53, v45, v47, s[48:49]                  // 00000000B128: D1000035 00C25F2D
	v_perm_b32 v184, v53, v52, s52                             // 00000000B130: D1ED00B8 00D26935
	v_cmp_u_f32_e64 s[48:49], v186, v186                       // 00000000B138: D0480030 000375BA
	v_add3_u32 v45, v186, v48, 1                               // 00000000B140: D1FF002D 020661BA
	v_cndmask_b32_e64 v52, v45, v47, s[48:49]                  // 00000000B148: D1000034 00C25F2D
	v_cmp_u_f32_e64 s[48:49], v187, v187                       // 00000000B150: D0480030 000377BB
	v_add3_u32 v45, v187, v48, 1                               // 00000000B158: D1FF002D 020661BB
	v_cndmask_b32_e64 v53, v45, v47, s[48:49]                  // 00000000B160: D1000035 00C25F2D
	v_perm_b32 v185, v53, v52, s52                             // 00000000B168: D1ED00B9 00D26935
	v_cmp_u_f32_e64 s[48:49], v188, v188                       // 00000000B170: D0480030 000379BC
	v_add3_u32 v45, v188, v48, 1                               // 00000000B178: D1FF002D 020661BC
	v_cndmask_b32_e64 v52, v45, v47, s[48:49]                  // 00000000B180: D1000034 00C25F2D
	v_cmp_u_f32_e64 s[48:49], v189, v189                       // 00000000B188: D0480030 00037BBD
	v_add3_u32 v45, v189, v48, 1                               // 00000000B190: D1FF002D 020661BD
	v_cndmask_b32_e64 v53, v45, v47, s[48:49]                  // 00000000B198: D1000035 00C25F2D
	v_perm_b32 v186, v53, v52, s52                             // 00000000B1A0: D1ED00BA 00D26935
	v_cmp_u_f32_e64 s[48:49], v190, v190                       // 00000000B1A8: D0480030 00037DBE
	v_add3_u32 v45, v190, v48, 1                               // 00000000B1B0: D1FF002D 020661BE
	v_cndmask_b32_e64 v52, v45, v47, s[48:49]                  // 00000000B1B8: D1000034 00C25F2D
	v_cmp_u_f32_e64 s[48:49], v191, v191                       // 00000000B1C0: D0480030 00037FBF
	v_add3_u32 v45, v191, v48, 1                               // 00000000B1C8: D1FF002D 020661BF
	v_cndmask_b32_e64 v53, v45, v47, s[48:49]                  // 00000000B1D0: D1000035 00C25F2D
	v_perm_b32 v187, v53, v52, s52                             // 00000000B1D8: D1ED00BB 00D26935
	v_cmp_u_f32_e64 s[48:49], v192, v192                       // 00000000B1E0: D0480030 000381C0
	v_add3_u32 v45, v192, v48, 1                               // 00000000B1E8: D1FF002D 020661C0
	v_cndmask_b32_e64 v52, v45, v47, s[48:49]                  // 00000000B1F0: D1000034 00C25F2D
	v_cmp_u_f32_e64 s[48:49], v193, v193                       // 00000000B1F8: D0480030 000383C1
	v_add3_u32 v45, v193, v48, 1                               // 00000000B200: D1FF002D 020661C1
	v_cndmask_b32_e64 v53, v45, v47, s[48:49]                  // 00000000B208: D1000035 00C25F2D
	v_perm_b32 v188, v53, v52, s52                             // 00000000B210: D1ED00BC 00D26935
	v_cmp_u_f32_e64 s[48:49], v194, v194                       // 00000000B218: D0480030 000385C2
	v_add3_u32 v45, v194, v48, 1                               // 00000000B220: D1FF002D 020661C2
	v_cndmask_b32_e64 v52, v45, v47, s[48:49]                  // 00000000B228: D1000034 00C25F2D
	v_cmp_u_f32_e64 s[48:49], v195, v195                       // 00000000B230: D0480030 000387C3
	v_add3_u32 v45, v195, v48, 1                               // 00000000B238: D1FF002D 020661C3
	v_cndmask_b32_e64 v53, v45, v47, s[48:49]                  // 00000000B240: D1000035 00C25F2D
	v_perm_b32 v189, v53, v52, s52                             // 00000000B248: D1ED00BD 00D26935
	v_cmp_u_f32_e64 s[48:49], v196, v196                       // 00000000B250: D0480030 000389C4
	v_add3_u32 v45, v196, v48, 1                               // 00000000B258: D1FF002D 020661C4
	v_cndmask_b32_e64 v52, v45, v47, s[48:49]                  // 00000000B260: D1000034 00C25F2D
	v_cmp_u_f32_e64 s[48:49], v197, v197                       // 00000000B268: D0480030 00038BC5
	v_add3_u32 v45, v197, v48, 1                               // 00000000B270: D1FF002D 020661C5
	v_cndmask_b32_e64 v53, v45, v47, s[48:49]                  // 00000000B278: D1000035 00C25F2D
	v_perm_b32 v190, v53, v52, s52                             // 00000000B280: D1ED00BE 00D26935
	v_cmp_u_f32_e64 s[48:49], v198, v198                       // 00000000B288: D0480030 00038DC6
	v_add3_u32 v45, v198, v48, 1                               // 00000000B290: D1FF002D 020661C6
	v_cndmask_b32_e64 v52, v45, v47, s[48:49]                  // 00000000B298: D1000034 00C25F2D
	v_cmp_u_f32_e64 s[48:49], v199, v199                       // 00000000B2A0: D0480030 00038FC7
	v_add3_u32 v45, v199, v48, 1                               // 00000000B2A8: D1FF002D 020661C7
	v_cndmask_b32_e64 v53, v45, v47, s[48:49]                  // 00000000B2B0: D1000035 00C25F2D
	v_perm_b32 v191, v53, v52, s52                             // 00000000B2B8: D1ED00BF 00D26935
	v_cmp_u_f32_e64 s[48:49], v200, v200                       // 00000000B2C0: D0480030 000391C8
	v_add3_u32 v45, v200, v48, 1                               // 00000000B2C8: D1FF002D 020661C8
	v_cndmask_b32_e64 v52, v45, v47, s[48:49]                  // 00000000B2D0: D1000034 00C25F2D
	v_cmp_u_f32_e64 s[48:49], v201, v201                       // 00000000B2D8: D0480030 000393C9
	v_add3_u32 v45, v201, v48, 1                               // 00000000B2E0: D1FF002D 020661C9
	v_cndmask_b32_e64 v53, v45, v47, s[48:49]                  // 00000000B2E8: D1000035 00C25F2D
	v_perm_b32 v192, v53, v52, s52                             // 00000000B2F0: D1ED00C0 00D26935
	v_cmp_u_f32_e64 s[48:49], v202, v202                       // 00000000B2F8: D0480030 000395CA
	v_add3_u32 v45, v202, v48, 1                               // 00000000B300: D1FF002D 020661CA
	v_cndmask_b32_e64 v52, v45, v47, s[48:49]                  // 00000000B308: D1000034 00C25F2D
	v_cmp_u_f32_e64 s[48:49], v203, v203                       // 00000000B310: D0480030 000397CB
	v_add3_u32 v45, v203, v48, 1                               // 00000000B318: D1FF002D 020661CB
	v_cndmask_b32_e64 v53, v45, v47, s[48:49]                  // 00000000B320: D1000035 00C25F2D
	v_perm_b32 v193, v53, v52, s52                             // 00000000B328: D1ED00C1 00D26935
	v_cmp_u_f32_e64 s[48:49], v204, v204                       // 00000000B330: D0480030 000399CC
	v_add3_u32 v45, v204, v48, 1                               // 00000000B338: D1FF002D 020661CC
	v_cndmask_b32_e64 v52, v45, v47, s[48:49]                  // 00000000B340: D1000034 00C25F2D
	v_cmp_u_f32_e64 s[48:49], v205, v205                       // 00000000B348: D0480030 00039BCD
	v_add3_u32 v45, v205, v48, 1                               // 00000000B350: D1FF002D 020661CD
	v_cndmask_b32_e64 v53, v45, v47, s[48:49]                  // 00000000B358: D1000035 00C25F2D
	v_perm_b32 v194, v53, v52, s52                             // 00000000B360: D1ED00C2 00D26935
	v_cmp_u_f32_e64 s[48:49], v206, v206                       // 00000000B368: D0480030 00039DCE
	v_add3_u32 v45, v206, v48, 1                               // 00000000B370: D1FF002D 020661CE
	v_cndmask_b32_e64 v52, v45, v47, s[48:49]                  // 00000000B378: D1000034 00C25F2D
	v_cmp_u_f32_e64 s[48:49], v207, v207                       // 00000000B380: D0480030 00039FCF
	v_add3_u32 v45, v207, v48, 1                               // 00000000B388: D1FF002D 020661CF
	v_cndmask_b32_e64 v53, v45, v47, s[48:49]                  // 00000000B390: D1000035 00C25F2D
	v_perm_b32 v195, v53, v52, s52                             // 00000000B398: D1ED00C3 00D26935
	v_cmp_u_f32_e64 s[48:49], v208, v208                       // 00000000B3A0: D0480030 0003A1D0
	v_add3_u32 v45, v208, v48, 1                               // 00000000B3A8: D1FF002D 020661D0
	v_cndmask_b32_e64 v52, v45, v47, s[48:49]                  // 00000000B3B0: D1000034 00C25F2D
	v_cmp_u_f32_e64 s[48:49], v209, v209                       // 00000000B3B8: D0480030 0003A3D1
	v_add3_u32 v45, v209, v48, 1                               // 00000000B3C0: D1FF002D 020661D1
	v_cndmask_b32_e64 v53, v45, v47, s[48:49]                  // 00000000B3C8: D1000035 00C25F2D
	v_perm_b32 v196, v53, v52, s52                             // 00000000B3D0: D1ED00C4 00D26935
	v_cmp_u_f32_e64 s[48:49], v210, v210                       // 00000000B3D8: D0480030 0003A5D2
	v_add3_u32 v45, v210, v48, 1                               // 00000000B3E0: D1FF002D 020661D2
	v_cndmask_b32_e64 v52, v45, v47, s[48:49]                  // 00000000B3E8: D1000034 00C25F2D
	v_cmp_u_f32_e64 s[48:49], v211, v211                       // 00000000B3F0: D0480030 0003A7D3
	v_add3_u32 v45, v211, v48, 1                               // 00000000B3F8: D1FF002D 020661D3
	v_cndmask_b32_e64 v53, v45, v47, s[48:49]                  // 00000000B400: D1000035 00C25F2D
	v_perm_b32 v197, v53, v52, s52                             // 00000000B408: D1ED00C5 00D26935
	v_cmp_u_f32_e64 s[48:49], v212, v212                       // 00000000B410: D0480030 0003A9D4
	v_add3_u32 v45, v212, v48, 1                               // 00000000B418: D1FF002D 020661D4
	v_cndmask_b32_e64 v52, v45, v47, s[48:49]                  // 00000000B420: D1000034 00C25F2D
	v_cmp_u_f32_e64 s[48:49], v213, v213                       // 00000000B428: D0480030 0003ABD5
	v_add3_u32 v45, v213, v48, 1                               // 00000000B430: D1FF002D 020661D5
	v_cndmask_b32_e64 v53, v45, v47, s[48:49]                  // 00000000B438: D1000035 00C25F2D
	v_perm_b32 v198, v53, v52, s52                             // 00000000B440: D1ED00C6 00D26935
	v_cmp_u_f32_e64 s[48:49], v214, v214                       // 00000000B448: D0480030 0003ADD6
	v_add3_u32 v45, v214, v48, 1                               // 00000000B450: D1FF002D 020661D6
	v_cndmask_b32_e64 v52, v45, v47, s[48:49]                  // 00000000B458: D1000034 00C25F2D
	v_cmp_u_f32_e64 s[48:49], v215, v215                       // 00000000B460: D0480030 0003AFD7
	v_add3_u32 v45, v215, v48, 1                               // 00000000B468: D1FF002D 020661D7
	v_cndmask_b32_e64 v53, v45, v47, s[48:49]                  // 00000000B470: D1000035 00C25F2D
	v_perm_b32 v199, v53, v52, s52                             // 00000000B478: D1ED00C7 00D26935
	s_cmp_ge_u32 s80, 0x200                                    // 00000000B480: BF09FF50 00000200
	s_cselect_b32 s59, 0x200, s59                              // 00000000B488: 853B3BFF 00000200
	s_setvskip s20, 0                                          // 00000000B490: BF108014
	global_atomic_pk_add_bf16 v80, v64, s[8:9]                 // 00000000B494: DD488000 00084050
	s_setvskip 0, 0                                            // 00000000B49C: BF108080
	s_setvskip s20, 0                                          // 00000000B4A0: BF108014
	global_atomic_pk_add_bf16 v80, v65, s[8:9] offset:256      // 00000000B4A4: DD488100 00084150
	s_setvskip 0, 0                                            // 00000000B4AC: BF108080
	s_setvskip s20, 1                                          // 00000000B4B0: BF108114
	global_atomic_pk_add_bf16 v82, v66, s[8:9]                 // 00000000B4B4: DD488000 00084252
	s_setvskip 0, 0                                            // 00000000B4BC: BF108080
	s_setvskip s20, 1                                          // 00000000B4C0: BF108114
	global_atomic_pk_add_bf16 v82, v67, s[8:9] offset:256      // 00000000B4C4: DD488100 00084352
	s_setvskip 0, 0                                            // 00000000B4CC: BF108080
	s_setvskip s20, 2                                          // 00000000B4D0: BF108214
	global_atomic_pk_add_bf16 v84, v68, s[8:9]                 // 00000000B4D4: DD488000 00084454
	s_setvskip 0, 0                                            // 00000000B4DC: BF108080
	s_setvskip s20, 2                                          // 00000000B4E0: BF108214
	global_atomic_pk_add_bf16 v84, v69, s[8:9] offset:256      // 00000000B4E4: DD488100 00084554
	s_setvskip 0, 0                                            // 00000000B4EC: BF108080
	s_setvskip s20, 3                                          // 00000000B4F0: BF108314
	global_atomic_pk_add_bf16 v86, v70, s[8:9]                 // 00000000B4F4: DD488000 00084656
	s_setvskip 0, 0                                            // 00000000B4FC: BF108080
	s_setvskip s20, 3                                          // 00000000B500: BF108314
	global_atomic_pk_add_bf16 v86, v71, s[8:9] offset:256      // 00000000B504: DD488100 00084756
	s_setvskip 0, 0                                            // 00000000B50C: BF108080
	s_setvskip s20, 4                                          // 00000000B510: BF108414
	global_atomic_pk_add_bf16 v88, v72, s[8:9]                 // 00000000B514: DD488000 00084858
	s_setvskip 0, 0                                            // 00000000B51C: BF108080
	s_setvskip s20, 4                                          // 00000000B520: BF108414
	global_atomic_pk_add_bf16 v88, v73, s[8:9] offset:256      // 00000000B524: DD488100 00084958
	s_setvskip 0, 0                                            // 00000000B52C: BF108080
	s_setvskip s20, 5                                          // 00000000B530: BF108514
	global_atomic_pk_add_bf16 v90, v74, s[8:9]                 // 00000000B534: DD488000 00084A5A
	s_setvskip 0, 0                                            // 00000000B53C: BF108080
	s_setvskip s20, 5                                          // 00000000B540: BF108514
	global_atomic_pk_add_bf16 v90, v75, s[8:9] offset:256      // 00000000B544: DD488100 00084B5A
	s_setvskip 0, 0                                            // 00000000B54C: BF108080
	s_setvskip s20, 6                                          // 00000000B550: BF108614
	global_atomic_pk_add_bf16 v92, v76, s[8:9]                 // 00000000B554: DD488000 00084C5C
	s_setvskip 0, 0                                            // 00000000B55C: BF108080
	s_setvskip s20, 6                                          // 00000000B560: BF108614
	global_atomic_pk_add_bf16 v92, v77, s[8:9] offset:256      // 00000000B564: DD488100 00084D5C
	s_setvskip 0, 0                                            // 00000000B56C: BF108080
	s_setvskip s20, 7                                          // 00000000B570: BF108714
	global_atomic_pk_add_bf16 v94, v78, s[8:9]                 // 00000000B574: DD488000 00084E5E
	s_setvskip 0, 0                                            // 00000000B57C: BF108080
	s_setvskip s20, 7                                          // 00000000B580: BF108714
	global_atomic_pk_add_bf16 v94, v79, s[8:9] offset:256      // 00000000B584: DD488100 00084F5E
	s_setvskip 0, 0                                            // 00000000B58C: BF108080
	s_add_u32 s8, s59, s8                                      // 00000000B590: 8008083B
	s_addc_u32 s9, 0, s9                                       // 00000000B594: 82090980
	s_addk_i32 s80, 0x100                                      // 00000000B598: B7500100
	s_cmp_lt_i32 s80, s81                                      // 00000000B59C: BF045150
	s_cbranch_scc0 label_13C1                                  // 00000000B5A0: BF84F1D8
	s_waitcnt vmcnt(25) lgkmcnt(0)                             // 00000000B5A4: BF8C4079
	s_barrier                                                  // 00000000B5A8: BF8A0000
	v_mfma_f32_16x16x32_fp8_fp8 v[216:219], a[112:113], v[128:129], 0// 00000000B5AC: D3F300D8 0A030170
	buffer_load_dwordx4 a[0:3], v41, s[12:15], 0 offen         // 00000000B5B4: E05C1000 80830029
	v_mfma_f32_16x16x32_fp8_fp8 v[216:219], a[114:115], v[130:131], v[216:219]// 00000000B5BC: D3F300D8 0F630572
	ds_read_b32 v64, v4 offset:36096                           // 00000000B5C4: D86C8D00 40000004
	ds_read_b32 v65, v4 offset:40448                           // 00000000B5CC: D86C9E00 41000004
	v_mfma_f32_16x16x32_fp8_fp8 v[220:223], a[112:113], v[156:157], 0// 00000000B5D4: D3F300DC 0A033970
	v_mfma_f32_16x16x32_fp8_fp8 v[220:223], a[114:115], v[158:159], v[220:223]// 00000000B5DC: D3F300DC 0F733D72
	ds_read_b32 v66, v4 offset:36128                           // 00000000B5E4: D86C8D20 42000004
	ds_read_b32 v67, v4 offset:40480                           // 00000000B5EC: D86C9E20 43000004
	v_mfma_f32_16x16x32_fp8_fp8 v[224:227], a[116:117], v[128:129], 0// 00000000B5F4: D3F300E0 0A030174
	buffer_load_dwordx4 a[4:7], v42, s[12:15], 0 offen         // 00000000B5FC: E05C1000 8083042A
	v_mfma_f32_16x16x32_fp8_fp8 v[224:227], a[118:119], v[130:131], v[224:227]// 00000000B604: D3F300E0 0F830576
	ds_read_b32 v68, v4 offset:36160                           // 00000000B60C: D86C8D40 44000004
	ds_read_b32 v69, v4 offset:40512                           // 00000000B614: D86C9E40 45000004
	v_mfma_f32_16x16x32_fp8_fp8 v[228:231], a[116:117], v[156:157], 0// 00000000B61C: D3F300E4 0A033974
	v_mfma_f32_16x16x32_fp8_fp8 v[228:231], a[118:119], v[158:159], v[228:231]// 00000000B624: D3F300E4 0F933D76
	ds_read_b32 v70, v4 offset:36192                           // 00000000B62C: D86C8D60 46000004
	ds_read_b32 v71, v4 offset:40544                           // 00000000B634: D86C9E60 47000004
	v_mfma_f32_16x16x32_fp8_fp8 v[232:235], a[120:121], v[128:129], 0// 00000000B63C: D3F300E8 0A030178
	buffer_load_dwordx4 a[8:11], v43, s[12:15], 0 offen        // 00000000B644: E05C1000 8083082B
	v_mfma_f32_16x16x32_fp8_fp8 v[232:235], a[122:123], v[130:131], v[232:235]// 00000000B64C: D3F300E8 0FA3057A
	ds_read_b32 v72, v4 offset:44800                           // 00000000B654: D86CAF00 48000004
	ds_read_b32 v73, v4 offset:49152                           // 00000000B65C: D86CC000 49000004
	v_mfma_f32_16x16x32_fp8_fp8 v[236:239], a[120:121], v[156:157], 0// 00000000B664: D3F300EC 0A033978
	v_mfma_f32_16x16x32_fp8_fp8 v[236:239], a[122:123], v[158:159], v[236:239]// 00000000B66C: D3F300EC 0FB33D7A
	ds_read_b32 v74, v4 offset:44832                           // 00000000B674: D86CAF20 4A000004
	ds_read_b32 v75, v4 offset:49184                           // 00000000B67C: D86CC020 4B000004
	v_mfma_f32_16x16x32_fp8_fp8 v[240:243], a[124:125], v[128:129], 0// 00000000B684: D3F300F0 0A03017C
	buffer_load_dwordx4 a[12:15], v44, s[12:15], 0 offen       // 00000000B68C: E05C1000 80830C2C
	s_add_u32 s12, s78, s12                                    // 00000000B694: 800C0C4E
	s_addc_u32 s13, 0, s13                                     // 00000000B698: 820D0D80
	v_mfma_f32_16x16x32_fp8_fp8 v[240:243], a[126:127], v[130:131], v[240:243]// 00000000B69C: D3F300F0 0FC3057E
	ds_read_b32 v76, v4 offset:44864                           // 00000000B6A4: D86CAF40 4C000004
	ds_read_b32 v77, v4 offset:49216                           // 00000000B6AC: D86CC040 4D000004
	v_mfma_f32_16x16x32_fp8_fp8 v[244:247], a[124:125], v[156:157], 0// 00000000B6B4: D3F300F4 0A03397C
	v_mfma_f32_16x16x32_fp8_fp8 v[244:247], a[126:127], v[158:159], v[244:247]// 00000000B6BC: D3F300F4 0FD33D7E
	ds_read_b32 v78, v4 offset:44896                           // 00000000B6C4: D86CAF60 4E000004
	ds_read_b32 v79, v4 offset:49248                           // 00000000B6CC: D86CC060 4F000004
	s_waitcnt vmcnt(25)                                        // 00000000B6D4: BF8C4F79
	v_mfma_f32_16x16x32_fp8_fp8 v[216:219], a[128:129], v[132:133], v[216:219]// 00000000B6D8: D3F300D8 0F630980
	buffer_load_dwordx4 a[16:19], v41, s[12:15], 0 offen       // 00000000B6E0: E05C1000 80831029
	v_mfma_f32_16x16x32_fp8_fp8 v[216:219], a[130:131], v[134:135], v[216:219]// 00000000B6E8: D3F300D8 0F630D82
	v_mfma_f32_16x16x32_fp8_fp8 v[220:223], a[128:129], v[160:161], v[220:223]// 00000000B6F0: D3F300DC 0F734180
	v_mfma_f32_16x16x32_fp8_fp8 v[220:223], a[130:131], v[162:163], v[220:223]// 00000000B6F8: D3F300DC 0F734582
	v_mfma_f32_16x16x32_fp8_fp8 v[224:227], a[132:133], v[132:133], v[224:227]// 00000000B700: D3F300E0 0F830984
	buffer_load_dwordx4 a[20:23], v42, s[12:15], 0 offen       // 00000000B708: E05C1000 8083142A
	v_mfma_f32_16x16x32_fp8_fp8 v[224:227], a[134:135], v[134:135], v[224:227]// 00000000B710: D3F300E0 0F830D86
	v_mfma_f32_16x16x32_fp8_fp8 v[228:231], a[132:133], v[160:161], v[228:231]// 00000000B718: D3F300E4 0F934184
	v_mfma_f32_16x16x32_fp8_fp8 v[228:231], a[134:135], v[162:163], v[228:231]// 00000000B720: D3F300E4 0F934586
	v_mfma_f32_16x16x32_fp8_fp8 v[232:235], a[136:137], v[132:133], v[232:235]// 00000000B728: D3F300E8 0FA30988
	buffer_load_dwordx4 a[24:27], v43, s[12:15], 0 offen       // 00000000B730: E05C1000 8083182B
	v_mfma_f32_16x16x32_fp8_fp8 v[232:235], a[138:139], v[134:135], v[232:235]// 00000000B738: D3F300E8 0FA30D8A
	v_mfma_f32_16x16x32_fp8_fp8 v[236:239], a[136:137], v[160:161], v[236:239]// 00000000B740: D3F300EC 0FB34188
	v_mfma_f32_16x16x32_fp8_fp8 v[236:239], a[138:139], v[162:163], v[236:239]// 00000000B748: D3F300EC 0FB3458A
	v_mfma_f32_16x16x32_fp8_fp8 v[240:243], a[140:141], v[132:133], v[240:243]// 00000000B750: D3F300F0 0FC3098C
	buffer_load_dwordx4 a[28:31], v44, s[12:15], 0 offen       // 00000000B758: E05C1000 80831C2C
	s_add_u32 s12, s78, s12                                    // 00000000B760: 800C0C4E
	s_addc_u32 s13, 0, s13                                     // 00000000B764: 820D0D80
	v_mfma_f32_16x16x32_fp8_fp8 v[240:243], a[142:143], v[134:135], v[240:243]// 00000000B768: D3F300F0 0FC30D8E
	v_mfma_f32_16x16x32_fp8_fp8 v[244:247], a[140:141], v[160:161], v[244:247]// 00000000B770: D3F300F4 0FD3418C
	v_mfma_f32_16x16x32_fp8_fp8 v[244:247], a[142:143], v[162:163], v[244:247]// 00000000B778: D3F300F4 0FD3458E
	s_waitcnt vmcnt(25)                                        // 00000000B780: BF8C4F79
	v_mfma_f32_16x16x32_fp8_fp8 v[216:219], a[144:145], v[136:137], v[216:219]// 00000000B784: D3F300D8 0F631190
	buffer_load_dwordx4 a[32:35], v41, s[12:15], 0 offen       // 00000000B78C: E05C1000 80832029
	v_mfma_f32_16x16x32_fp8_fp8 v[216:219], a[146:147], v[138:139], v[216:219]// 00000000B794: D3F300D8 0F631592
	ds_write_b64 v3, v[184:185] offset:18688                   // 00000000B79C: D89A4900 0000B803
	v_mfma_f32_16x16x32_fp8_fp8 v[220:223], a[144:145], v[164:165], v[220:223]// 00000000B7A4: D3F300DC 0F734990
	v_mfma_f32_16x16x32_fp8_fp8 v[220:223], a[146:147], v[166:167], v[220:223]// 00000000B7AC: D3F300DC 0F734D92
	ds_write_b64 v3, v[186:187] offset:27392                   // 00000000B7B4: D89A6B00 0000BA03
	v_mfma_f32_16x16x32_fp8_fp8 v[224:227], a[148:149], v[136:137], v[224:227]// 00000000B7BC: D3F300E0 0F831194
	buffer_load_dwordx4 a[36:39], v42, s[12:15], 0 offen       // 00000000B7C4: E05C1000 8083242A
	v_mfma_f32_16x16x32_fp8_fp8 v[224:227], a[150:151], v[138:139], v[224:227]// 00000000B7CC: D3F300E0 0F831596
	ds_write_b64 v3, v[188:189] offset:20864                   // 00000000B7D4: D89A5180 0000BC03
	v_mfma_f32_16x16x32_fp8_fp8 v[228:231], a[148:149], v[164:165], v[228:231]// 00000000B7DC: D3F300E4 0F934994
	v_mfma_f32_16x16x32_fp8_fp8 v[228:231], a[150:151], v[166:167], v[228:231]// 00000000B7E4: D3F300E4 0F934D96
	ds_write_b64 v3, v[190:191] offset:29568                   // 00000000B7EC: D89A7380 0000BE03
	v_mfma_f32_16x16x32_fp8_fp8 v[232:235], a[152:153], v[136:137], v[232:235]// 00000000B7F4: D3F300E8 0FA31198
	buffer_load_dwordx4 a[40:43], v43, s[12:15], 0 offen       // 00000000B7FC: E05C1000 8083282B
	v_mfma_f32_16x16x32_fp8_fp8 v[232:235], a[154:155], v[138:139], v[232:235]// 00000000B804: D3F300E8 0FA3159A
	ds_write_b64 v3, v[192:193] offset:23040                   // 00000000B80C: D89A5A00 0000C003
	v_mfma_f32_16x16x32_fp8_fp8 v[236:239], a[152:153], v[164:165], v[236:239]// 00000000B814: D3F300EC 0FB34998
	v_mfma_f32_16x16x32_fp8_fp8 v[236:239], a[154:155], v[166:167], v[236:239]// 00000000B81C: D3F300EC 0FB34D9A
	ds_write_b64 v3, v[194:195] offset:31744                   // 00000000B824: D89A7C00 0000C203
	v_mfma_f32_16x16x32_fp8_fp8 v[240:243], a[156:157], v[136:137], v[240:243]// 00000000B82C: D3F300F0 0FC3119C
	buffer_load_dwordx4 a[44:47], v44, s[12:15], 0 offen       // 00000000B834: E05C1000 80832C2C
	s_add_u32 s12, s78, s12                                    // 00000000B83C: 800C0C4E
	s_addc_u32 s13, 0, s13                                     // 00000000B840: 820D0D80
	v_mfma_f32_16x16x32_fp8_fp8 v[240:243], a[158:159], v[138:139], v[240:243]// 00000000B844: D3F300F0 0FC3159E
	ds_write_b64 v3, v[196:197] offset:25216                   // 00000000B84C: D89A6280 0000C403
	v_mfma_f32_16x16x32_fp8_fp8 v[244:247], a[156:157], v[164:165], v[244:247]// 00000000B854: D3F300F4 0FD3499C
	v_mfma_f32_16x16x32_fp8_fp8 v[244:247], a[158:159], v[166:167], v[244:247]// 00000000B85C: D3F300F4 0FD34D9E
	ds_write_b64 v3, v[198:199] offset:33920                   // 00000000B864: D89A8480 0000C603
	s_waitcnt vmcnt(25)                                        // 00000000B86C: BF8C4F79
	v_mfma_f32_16x16x32_fp8_fp8 v[216:219], a[160:161], v[140:141], v[216:219]// 00000000B870: D3F300D8 0F6319A0
	buffer_load_dwordx4 a[48:51], v41, s[12:15], 0 offen       // 00000000B878: E05C1000 80833029
	v_mfma_f32_16x16x32_fp8_fp8 v[216:219], a[162:163], v[142:143], v[216:219]// 00000000B880: D3F300D8 0F631DA2
	v_mfma_f32_16x16x32_fp8_fp8 v[220:223], a[160:161], v[168:169], v[220:223]// 00000000B888: D3F300DC 0F7351A0
	v_mfma_f32_16x16x32_fp8_fp8 v[220:223], a[162:163], v[170:171], v[220:223]// 00000000B890: D3F300DC 0F7355A2
	v_mfma_f32_16x16x32_fp8_fp8 v[224:227], a[164:165], v[140:141], v[224:227]// 00000000B898: D3F300E0 0F8319A4
	buffer_load_dwordx4 a[52:55], v42, s[12:15], 0 offen       // 00000000B8A0: E05C1000 8083342A
	v_mfma_f32_16x16x32_fp8_fp8 v[224:227], a[166:167], v[142:143], v[224:227]// 00000000B8A8: D3F300E0 0F831DA6
	v_mfma_f32_16x16x32_fp8_fp8 v[228:231], a[164:165], v[168:169], v[228:231]// 00000000B8B0: D3F300E4 0F9351A4
	v_mfma_f32_16x16x32_fp8_fp8 v[228:231], a[166:167], v[170:171], v[228:231]// 00000000B8B8: D3F300E4 0F9355A6
	v_mfma_f32_16x16x32_fp8_fp8 v[232:235], a[168:169], v[140:141], v[232:235]// 00000000B8C0: D3F300E8 0FA319A8
	buffer_load_dwordx4 a[56:59], v43, s[12:15], 0 offen       // 00000000B8C8: E05C1000 8083382B
	v_mfma_f32_16x16x32_fp8_fp8 v[232:235], a[170:171], v[142:143], v[232:235]// 00000000B8D0: D3F300E8 0FA31DAA
	v_mfma_f32_16x16x32_fp8_fp8 v[236:239], a[168:169], v[168:169], v[236:239]// 00000000B8D8: D3F300EC 0FB351A8
	v_mfma_f32_16x16x32_fp8_fp8 v[236:239], a[170:171], v[170:171], v[236:239]// 00000000B8E0: D3F300EC 0FB355AA
	v_mfma_f32_16x16x32_fp8_fp8 v[240:243], a[172:173], v[140:141], v[240:243]// 00000000B8E8: D3F300F0 0FC319AC
	buffer_load_dwordx4 a[60:63], v44, s[12:15], 0 offen       // 00000000B8F0: E05C1000 80833C2C
	s_add_u32 s12, s78, s12                                    // 00000000B8F8: 800C0C4E
	s_addc_u32 s13, 0, s13                                     // 00000000B8FC: 820D0D80
	v_mfma_f32_16x16x32_fp8_fp8 v[240:243], a[174:175], v[142:143], v[240:243]// 00000000B900: D3F300F0 0FC31DAE
	v_mfma_f32_16x16x32_fp8_fp8 v[244:247], a[172:173], v[168:169], v[244:247]// 00000000B908: D3F300F4 0FD351AC
	v_mfma_f32_16x16x32_fp8_fp8 v[244:247], a[174:175], v[170:171], v[244:247]// 00000000B910: D3F300F4 0FD355AE
	s_waitcnt vmcnt(25)                                        // 00000000B918: BF8C4F79
	v_mfma_f32_16x16x32_fp8_fp8 v[216:219], a[176:177], v[144:145], v[216:219]// 00000000B91C: D3F300D8 0F6321B0
	buffer_load_dwordx4 a[64:67], v41, s[12:15], 0 offen       // 00000000B924: E05C1000 80834029
	v_mfma_f32_16x16x32_fp8_fp8 v[216:219], a[178:179], v[146:147], v[216:219]// 00000000B92C: D3F300D8 0F6325B2
	v_mfma_f32_16x16x32_fp8_fp8 v[220:223], a[176:177], v[172:173], v[220:223]// 00000000B934: D3F300DC 0F7359B0
	v_mfma_f32_16x16x32_fp8_fp8 v[220:223], a[178:179], v[174:175], v[220:223]// 00000000B93C: D3F300DC 0F735DB2
	v_mfma_f32_16x16x32_fp8_fp8 v[224:227], a[180:181], v[144:145], v[224:227]// 00000000B944: D3F300E0 0F8321B4
	buffer_load_dwordx4 a[68:71], v42, s[12:15], 0 offen       // 00000000B94C: E05C1000 8083442A
	v_mfma_f32_16x16x32_fp8_fp8 v[224:227], a[182:183], v[146:147], v[224:227]// 00000000B954: D3F300E0 0F8325B6
	v_mfma_f32_16x16x32_fp8_fp8 v[228:231], a[180:181], v[172:173], v[228:231]// 00000000B95C: D3F300E4 0F9359B4
	v_mfma_f32_16x16x32_fp8_fp8 v[228:231], a[182:183], v[174:175], v[228:231]// 00000000B964: D3F300E4 0F935DB6
	v_mfma_f32_16x16x32_fp8_fp8 v[232:235], a[184:185], v[144:145], v[232:235]// 00000000B96C: D3F300E8 0FA321B8
	buffer_load_dwordx4 a[72:75], v43, s[12:15], 0 offen       // 00000000B974: E05C1000 8083482B
	v_mfma_f32_16x16x32_fp8_fp8 v[232:235], a[186:187], v[146:147], v[232:235]// 00000000B97C: D3F300E8 0FA325BA
	v_mfma_f32_16x16x32_fp8_fp8 v[236:239], a[184:185], v[172:173], v[236:239]// 00000000B984: D3F300EC 0FB359B8
	v_mfma_f32_16x16x32_fp8_fp8 v[236:239], a[186:187], v[174:175], v[236:239]// 00000000B98C: D3F300EC 0FB35DBA
	v_mfma_f32_16x16x32_fp8_fp8 v[240:243], a[188:189], v[144:145], v[240:243]// 00000000B994: D3F300F0 0FC321BC
	buffer_load_dwordx4 a[76:79], v44, s[12:15], 0 offen       // 00000000B99C: E05C1000 80834C2C
	s_add_u32 s12, s78, s12                                    // 00000000B9A4: 800C0C4E
	s_addc_u32 s13, 0, s13                                     // 00000000B9A8: 820D0D80
	v_mfma_f32_16x16x32_fp8_fp8 v[240:243], a[190:191], v[146:147], v[240:243]// 00000000B9AC: D3F300F0 0FC325BE
	v_mfma_f32_16x16x32_fp8_fp8 v[244:247], a[188:189], v[172:173], v[244:247]// 00000000B9B4: D3F300F4 0FD359BC
	v_mfma_f32_16x16x32_fp8_fp8 v[244:247], a[190:191], v[174:175], v[244:247]// 00000000B9BC: D3F300F4 0FD35DBE
	s_waitcnt vmcnt(25)                                        // 00000000B9C4: BF8C4F79
	v_mfma_f32_16x16x32_fp8_fp8 v[216:219], a[192:193], v[148:149], v[216:219]// 00000000B9C8: D3F300D8 0F6329C0
	buffer_load_dwordx4 a[80:83], v41, s[12:15], 0 offen       // 00000000B9D0: E05C1000 80835029
	v_mfma_f32_16x16x32_fp8_fp8 v[216:219], a[194:195], v[150:151], v[216:219]// 00000000B9D8: D3F300D8 0F632DC2
	v_mfma_f32_16x16x32_fp8_fp8 v[220:223], a[192:193], v[176:177], v[220:223]// 00000000B9E0: D3F300DC 0F7361C0
	v_mfma_f32_16x16x32_fp8_fp8 v[220:223], a[194:195], v[178:179], v[220:223]// 00000000B9E8: D3F300DC 0F7365C2
	v_mfma_f32_16x16x32_fp8_fp8 v[224:227], a[196:197], v[148:149], v[224:227]// 00000000B9F0: D3F300E0 0F8329C4
	buffer_load_dwordx4 a[84:87], v42, s[12:15], 0 offen       // 00000000B9F8: E05C1000 8083542A
	v_mfma_f32_16x16x32_fp8_fp8 v[224:227], a[198:199], v[150:151], v[224:227]// 00000000BA00: D3F300E0 0F832DC6
	v_mfma_f32_16x16x32_fp8_fp8 v[228:231], a[196:197], v[176:177], v[228:231]// 00000000BA08: D3F300E4 0F9361C4
	v_mfma_f32_16x16x32_fp8_fp8 v[228:231], a[198:199], v[178:179], v[228:231]// 00000000BA10: D3F300E4 0F9365C6
	v_mfma_f32_16x16x32_fp8_fp8 v[232:235], a[200:201], v[148:149], v[232:235]// 00000000BA18: D3F300E8 0FA329C8
	buffer_load_dwordx4 a[88:91], v43, s[12:15], 0 offen       // 00000000BA20: E05C1000 8083582B
	v_mfma_f32_16x16x32_fp8_fp8 v[232:235], a[202:203], v[150:151], v[232:235]// 00000000BA28: D3F300E8 0FA32DCA
	v_mfma_f32_16x16x32_fp8_fp8 v[236:239], a[200:201], v[176:177], v[236:239]// 00000000BA30: D3F300EC 0FB361C8
	v_mfma_f32_16x16x32_fp8_fp8 v[236:239], a[202:203], v[178:179], v[236:239]// 00000000BA38: D3F300EC 0FB365CA
	v_mfma_f32_16x16x32_fp8_fp8 v[240:243], a[204:205], v[148:149], v[240:243]// 00000000BA40: D3F300F0 0FC329CC
	buffer_load_dwordx4 a[92:95], v44, s[12:15], 0 offen       // 00000000BA48: E05C1000 80835C2C
	s_add_u32 s12, s78, s12                                    // 00000000BA50: 800C0C4E
	s_addc_u32 s13, 0, s13                                     // 00000000BA54: 820D0D80
	v_mfma_f32_16x16x32_fp8_fp8 v[240:243], a[206:207], v[150:151], v[240:243]// 00000000BA58: D3F300F0 0FC32DCE
	v_mfma_f32_16x16x32_fp8_fp8 v[244:247], a[204:205], v[176:177], v[244:247]// 00000000BA60: D3F300F4 0FD361CC
	v_mfma_f32_16x16x32_fp8_fp8 v[244:247], a[206:207], v[178:179], v[244:247]// 00000000BA68: D3F300F4 0FD365CE
	s_waitcnt vmcnt(24)                                        // 00000000BA70: BF8C4F78
	v_mfma_f32_16x16x32_fp8_fp8 v[216:219], a[208:209], v[152:153], v[216:219]// 00000000BA74: D3F300D8 0F6331D0
	buffer_load_dwordx4 a[96:99], v41, s[12:15], 0 offen       // 00000000BA7C: E05C1000 80836029
	v_mfma_f32_16x16x32_fp8_fp8 v[216:219], a[210:211], v[154:155], v[216:219]// 00000000BA84: D3F300D8 0F6335D2
	v_mfma_f32_16x16x32_fp8_fp8 v[220:223], a[208:209], v[180:181], v[220:223]// 00000000BA8C: D3F300DC 0F7369D0
	buffer_load_dword v12, v5, s[16:19], 0 offen               // 00000000BA94: E0501000 80040C05
	v_mfma_f32_16x16x32_fp8_fp8 v[220:223], a[210:211], v[182:183], v[220:223]// 00000000BA9C: D3F300DC 0F736DD2
	v_mfma_f32_16x16x32_fp8_fp8 v[224:227], a[212:213], v[152:153], v[224:227]// 00000000BAA4: D3F300E0 0F8331D4
	buffer_load_dwordx4 a[100:103], v42, s[12:15], 0 offen     // 00000000BAAC: E05C1000 8083642A
	v_mfma_f32_16x16x32_fp8_fp8 v[224:227], a[214:215], v[154:155], v[224:227]// 00000000BAB4: D3F300E0 0F8335D6
	v_mfma_f32_16x16x32_fp8_fp8 v[228:231], a[212:213], v[180:181], v[228:231]// 00000000BABC: D3F300E4 0F9369D4
	v_mfma_f32_16x16x32_fp8_fp8 v[228:231], a[214:215], v[182:183], v[228:231]// 00000000BAC4: D3F300E4 0F936DD6
	v_mfma_f32_16x16x32_fp8_fp8 v[232:235], a[216:217], v[152:153], v[232:235]// 00000000BACC: D3F300E8 0FA331D8
	buffer_load_dwordx4 a[104:107], v43, s[12:15], 0 offen     // 00000000BAD4: E05C1000 8083682B
	v_mfma_f32_16x16x32_fp8_fp8 v[232:235], a[218:219], v[154:155], v[232:235]// 00000000BADC: D3F300E8 0FA335DA
	v_mfma_f32_16x16x32_fp8_fp8 v[236:239], a[216:217], v[180:181], v[236:239]// 00000000BAE4: D3F300EC 0FB369D8
	v_mfma_f32_16x16x32_fp8_fp8 v[236:239], a[218:219], v[182:183], v[236:239]// 00000000BAEC: D3F300EC 0FB36DDA
	v_mfma_f32_16x16x32_fp8_fp8 v[240:243], a[220:221], v[152:153], v[240:243]// 00000000BAF4: D3F300F0 0FC331DC
	buffer_load_dwordx4 a[108:111], v44, s[12:15], 0 offen     // 00000000BAFC: E05C1000 80836C2C
	v_mfma_f32_16x16x32_fp8_fp8 v[240:243], a[222:223], v[154:155], v[240:243]// 00000000BB04: D3F300F0 0FC335DE
	v_mfma_f32_16x16x32_fp8_fp8 v[244:247], a[220:221], v[180:181], v[244:247]// 00000000BB0C: D3F300F4 0FD369DC
	v_mfma_f32_16x16x32_fp8_fp8 v[244:247], a[222:223], v[182:183], v[244:247]// 00000000BB14: D3F300F4 0FD36DDE
	s_add_u32 s60, 0x200, s80                                  // 00000000BB1C: 803C50FF 00000200
	s_cmp_lt_u32 s60, s81                                      // 00000000BB24: BF0A513C
	s_cselect_b32 s56, s56, 0                                  // 00000000BB28: 85388038
	s_cselect_b32 s78, s78, 0                                  // 00000000BB2C: 854E804E
	s_cselect_b32 s79, s79, 0                                  // 00000000BB30: 854F804F
	s_add_u32 s12, s56, s12                                    // 00000000BB34: 800C0C38
	s_addc_u32 s13, 0, s13                                     // 00000000BB38: 820D0D80
	s_add_u32 s16, s79, s16                                    // 00000000BB3C: 8010104F
	s_addc_u32 s17, 0, s17                                     // 00000000BB40: 82111180
	v_mul_f32_e32 v216, v24, v216                              // 00000000BB44: 0BB1B118
	v_mul_f32_e32 v217, v24, v217                              // 00000000BB48: 0BB3B318
	v_mul_f32_e32 v218, v24, v218                              // 00000000BB4C: 0BB5B518
	v_mul_f32_e32 v219, v24, v219                              // 00000000BB50: 0BB7B718
	v_mul_f32_dpp v216, v13, v216 row_newbcast:0 row_mask:0xf bank_mask:0xf// 00000000BB54: 0BB1B0FA FF01500D
	v_mul_f32_dpp v217, v13, v217 row_newbcast:1 row_mask:0xf bank_mask:0xf// 00000000BB5C: 0BB3B2FA FF01510D
	v_mul_f32_dpp v218, v13, v218 row_newbcast:2 row_mask:0xf bank_mask:0xf// 00000000BB64: 0BB5B4FA FF01520D
	v_mul_f32_dpp v219, v13, v219 row_newbcast:3 row_mask:0xf bank_mask:0xf// 00000000BB6C: 0BB7B6FA FF01530D
	v_mul_f32_e32 v216, v20, v216                              // 00000000BB74: 0BB1B114
	v_mul_f32_e32 v217, v20, v217                              // 00000000BB78: 0BB3B314
	v_mul_f32_e32 v218, v20, v218                              // 00000000BB7C: 0BB5B514
	v_mul_f32_e32 v219, v20, v219                              // 00000000BB80: 0BB7B714
	v_mul_f32_e32 v220, v25, v220                              // 00000000BB84: 0BB9B919
	v_mul_f32_e32 v221, v25, v221                              // 00000000BB88: 0BBBBB19
	v_mul_f32_e32 v222, v25, v222                              // 00000000BB8C: 0BBDBD19
	v_mul_f32_e32 v223, v25, v223                              // 00000000BB90: 0BBFBF19
	v_mul_f32_dpp v220, v13, v220 row_newbcast:0 row_mask:0xf bank_mask:0xf// 00000000BB94: 0BB9B8FA FF01500D
	v_mul_f32_dpp v221, v13, v221 row_newbcast:1 row_mask:0xf bank_mask:0xf// 00000000BB9C: 0BBBBAFA FF01510D
	v_mul_f32_dpp v222, v13, v222 row_newbcast:2 row_mask:0xf bank_mask:0xf// 00000000BBA4: 0BBDBCFA FF01520D
	v_mul_f32_dpp v223, v13, v223 row_newbcast:3 row_mask:0xf bank_mask:0xf// 00000000BBAC: 0BBFBEFA FF01530D
	v_mul_f32_e32 v220, v21, v220                              // 00000000BBB4: 0BB9B915
	v_mul_f32_e32 v221, v21, v221                              // 00000000BBB8: 0BBBBB15
	v_mul_f32_e32 v222, v21, v222                              // 00000000BBBC: 0BBDBD15
	v_mul_f32_e32 v223, v21, v223                              // 00000000BBC0: 0BBFBF15
	v_mul_f32_e32 v224, v24, v224                              // 00000000BBC4: 0BC1C118
	v_mul_f32_e32 v225, v24, v225                              // 00000000BBC8: 0BC3C318
	v_mul_f32_e32 v226, v24, v226                              // 00000000BBCC: 0BC5C518
	v_mul_f32_e32 v227, v24, v227                              // 00000000BBD0: 0BC7C718
	v_mul_f32_dpp v224, v13, v224 row_newbcast:4 row_mask:0xf bank_mask:0xf// 00000000BBD4: 0BC1C0FA FF01540D
	v_mul_f32_dpp v225, v13, v225 row_newbcast:5 row_mask:0xf bank_mask:0xf// 00000000BBDC: 0BC3C2FA FF01550D
	v_mul_f32_dpp v226, v13, v226 row_newbcast:6 row_mask:0xf bank_mask:0xf// 00000000BBE4: 0BC5C4FA FF01560D
	v_mul_f32_dpp v227, v13, v227 row_newbcast:7 row_mask:0xf bank_mask:0xf// 00000000BBEC: 0BC7C6FA FF01570D
	v_mul_f32_e32 v224, v20, v224                              // 00000000BBF4: 0BC1C114
	v_mul_f32_e32 v225, v20, v225                              // 00000000BBF8: 0BC3C314
	v_mul_f32_e32 v226, v20, v226                              // 00000000BBFC: 0BC5C514
	v_mul_f32_e32 v227, v20, v227                              // 00000000BC00: 0BC7C714
	v_mul_f32_e32 v228, v25, v228                              // 00000000BC04: 0BC9C919
	v_mul_f32_e32 v229, v25, v229                              // 00000000BC08: 0BCBCB19
	v_mul_f32_e32 v230, v25, v230                              // 00000000BC0C: 0BCDCD19
	v_mul_f32_e32 v231, v25, v231                              // 00000000BC10: 0BCFCF19
	v_mul_f32_dpp v228, v13, v228 row_newbcast:4 row_mask:0xf bank_mask:0xf// 00000000BC14: 0BC9C8FA FF01540D
	v_mul_f32_dpp v229, v13, v229 row_newbcast:5 row_mask:0xf bank_mask:0xf// 00000000BC1C: 0BCBCAFA FF01550D
	v_mul_f32_dpp v230, v13, v230 row_newbcast:6 row_mask:0xf bank_mask:0xf// 00000000BC24: 0BCDCCFA FF01560D
	v_mul_f32_dpp v231, v13, v231 row_newbcast:7 row_mask:0xf bank_mask:0xf// 00000000BC2C: 0BCFCEFA FF01570D
	v_mul_f32_e32 v228, v21, v228                              // 00000000BC34: 0BC9C915
	v_mul_f32_e32 v229, v21, v229                              // 00000000BC38: 0BCBCB15
	v_mul_f32_e32 v230, v21, v230                              // 00000000BC3C: 0BCDCD15
	v_mul_f32_e32 v231, v21, v231                              // 00000000BC40: 0BCFCF15
	v_mul_f32_e32 v232, v24, v232                              // 00000000BC44: 0BD1D118
	v_mul_f32_e32 v233, v24, v233                              // 00000000BC48: 0BD3D318
	v_mul_f32_e32 v234, v24, v234                              // 00000000BC4C: 0BD5D518
	v_mul_f32_e32 v235, v24, v235                              // 00000000BC50: 0BD7D718
	v_mul_f32_dpp v232, v13, v232 row_newbcast:8 row_mask:0xf bank_mask:0xf// 00000000BC54: 0BD1D0FA FF01580D
	v_mul_f32_dpp v233, v13, v233 row_newbcast:9 row_mask:0xf bank_mask:0xf// 00000000BC5C: 0BD3D2FA FF01590D
	v_mul_f32_dpp v234, v13, v234 row_newbcast:10 row_mask:0xf bank_mask:0xf// 00000000BC64: 0BD5D4FA FF015A0D
	v_mul_f32_dpp v235, v13, v235 row_newbcast:11 row_mask:0xf bank_mask:0xf// 00000000BC6C: 0BD7D6FA FF015B0D
	v_mul_f32_e32 v232, v20, v232                              // 00000000BC74: 0BD1D114
	v_mul_f32_e32 v233, v20, v233                              // 00000000BC78: 0BD3D314
	v_mul_f32_e32 v234, v20, v234                              // 00000000BC7C: 0BD5D514
	v_mul_f32_e32 v235, v20, v235                              // 00000000BC80: 0BD7D714
	v_mul_f32_e32 v236, v25, v236                              // 00000000BC84: 0BD9D919
	v_mul_f32_e32 v237, v25, v237                              // 00000000BC88: 0BDBDB19
	v_mul_f32_e32 v238, v25, v238                              // 00000000BC8C: 0BDDDD19
	v_mul_f32_e32 v239, v25, v239                              // 00000000BC90: 0BDFDF19
	v_mul_f32_dpp v236, v13, v236 row_newbcast:8 row_mask:0xf bank_mask:0xf// 00000000BC94: 0BD9D8FA FF01580D
	v_mul_f32_dpp v237, v13, v237 row_newbcast:9 row_mask:0xf bank_mask:0xf// 00000000BC9C: 0BDBDAFA FF01590D
	v_mul_f32_dpp v238, v13, v238 row_newbcast:10 row_mask:0xf bank_mask:0xf// 00000000BCA4: 0BDDDCFA FF015A0D
	v_mul_f32_dpp v239, v13, v239 row_newbcast:11 row_mask:0xf bank_mask:0xf// 00000000BCAC: 0BDFDEFA FF015B0D
	v_mul_f32_e32 v236, v21, v236                              // 00000000BCB4: 0BD9D915
	v_mul_f32_e32 v237, v21, v237                              // 00000000BCB8: 0BDBDB15
	v_mul_f32_e32 v238, v21, v238                              // 00000000BCBC: 0BDDDD15
	v_mul_f32_e32 v239, v21, v239                              // 00000000BCC0: 0BDFDF15
	v_mul_f32_e32 v240, v24, v240                              // 00000000BCC4: 0BE1E118
	v_mul_f32_e32 v241, v24, v241                              // 00000000BCC8: 0BE3E318
	v_mul_f32_e32 v242, v24, v242                              // 00000000BCCC: 0BE5E518
	v_mul_f32_e32 v243, v24, v243                              // 00000000BCD0: 0BE7E718
	v_mul_f32_dpp v240, v13, v240 row_newbcast:12 row_mask:0xf bank_mask:0xf// 00000000BCD4: 0BE1E0FA FF015C0D
	v_mul_f32_dpp v241, v13, v241 row_newbcast:13 row_mask:0xf bank_mask:0xf// 00000000BCDC: 0BE3E2FA FF015D0D
	v_mul_f32_dpp v242, v13, v242 row_newbcast:14 row_mask:0xf bank_mask:0xf// 00000000BCE4: 0BE5E4FA FF015E0D
	v_mul_f32_dpp v243, v13, v243 row_newbcast:15 row_mask:0xf bank_mask:0xf// 00000000BCEC: 0BE7E6FA FF015F0D
	v_mul_f32_e32 v240, v20, v240                              // 00000000BCF4: 0BE1E114
	v_mul_f32_e32 v241, v20, v241                              // 00000000BCF8: 0BE3E314
	v_mul_f32_e32 v242, v20, v242                              // 00000000BCFC: 0BE5E514
	v_mul_f32_e32 v243, v20, v243                              // 00000000BD00: 0BE7E714
	v_mul_f32_e32 v244, v25, v244                              // 00000000BD04: 0BE9E919
	v_mul_f32_e32 v245, v25, v245                              // 00000000BD08: 0BEBEB19
	v_mul_f32_e32 v246, v25, v246                              // 00000000BD0C: 0BEDED19
	v_mul_f32_e32 v247, v25, v247                              // 00000000BD10: 0BEFEF19
	v_mul_f32_dpp v244, v13, v244 row_newbcast:12 row_mask:0xf bank_mask:0xf// 00000000BD14: 0BE9E8FA FF015C0D
	v_mul_f32_dpp v245, v13, v245 row_newbcast:13 row_mask:0xf bank_mask:0xf// 00000000BD1C: 0BEBEAFA FF015D0D
	v_mul_f32_dpp v246, v13, v246 row_newbcast:14 row_mask:0xf bank_mask:0xf// 00000000BD24: 0BEDECFA FF015E0D
	v_mul_f32_dpp v247, v13, v247 row_newbcast:15 row_mask:0xf bank_mask:0xf// 00000000BD2C: 0BEFEEFA FF015F0D
	v_mul_f32_e32 v244, v21, v244                              // 00000000BD34: 0BE9E915
	v_mul_f32_e32 v245, v21, v245                              // 00000000BD38: 0BEBEB15
	v_mul_f32_e32 v246, v21, v246                              // 00000000BD3C: 0BEDED15
	v_mul_f32_e32 v247, v21, v247                              // 00000000BD40: 0BEFEF15
	v_cmp_u_f32_e64 s[48:49], v216, v216                       // 00000000BD44: D0480030 0003B1D8
	v_add3_u32 v45, v216, v48, 1                               // 00000000BD4C: D1FF002D 020661D8
	v_cndmask_b32_e64 v52, v45, v47, s[48:49]                  // 00000000BD54: D1000034 00C25F2D
	v_cmp_u_f32_e64 s[48:49], v217, v217                       // 00000000BD5C: D0480030 0003B3D9
	v_add3_u32 v45, v217, v48, 1                               // 00000000BD64: D1FF002D 020661D9
	v_cndmask_b32_e64 v53, v45, v47, s[48:49]                  // 00000000BD6C: D1000035 00C25F2D
	v_perm_b32 v216, v53, v52, s52                             // 00000000BD74: D1ED00D8 00D26935
	v_cmp_u_f32_e64 s[48:49], v218, v218                       // 00000000BD7C: D0480030 0003B5DA
	v_add3_u32 v45, v218, v48, 1                               // 00000000BD84: D1FF002D 020661DA
	v_cndmask_b32_e64 v52, v45, v47, s[48:49]                  // 00000000BD8C: D1000034 00C25F2D
	v_cmp_u_f32_e64 s[48:49], v219, v219                       // 00000000BD94: D0480030 0003B7DB
	v_add3_u32 v45, v219, v48, 1                               // 00000000BD9C: D1FF002D 020661DB
	v_cndmask_b32_e64 v53, v45, v47, s[48:49]                  // 00000000BDA4: D1000035 00C25F2D
	v_perm_b32 v217, v53, v52, s52                             // 00000000BDAC: D1ED00D9 00D26935
	v_cmp_u_f32_e64 s[48:49], v220, v220                       // 00000000BDB4: D0480030 0003B9DC
	v_add3_u32 v45, v220, v48, 1                               // 00000000BDBC: D1FF002D 020661DC
	v_cndmask_b32_e64 v52, v45, v47, s[48:49]                  // 00000000BDC4: D1000034 00C25F2D
	v_cmp_u_f32_e64 s[48:49], v221, v221                       // 00000000BDCC: D0480030 0003BBDD
	v_add3_u32 v45, v221, v48, 1                               // 00000000BDD4: D1FF002D 020661DD
	v_cndmask_b32_e64 v53, v45, v47, s[48:49]                  // 00000000BDDC: D1000035 00C25F2D
	v_perm_b32 v218, v53, v52, s52                             // 00000000BDE4: D1ED00DA 00D26935
	v_cmp_u_f32_e64 s[48:49], v222, v222                       // 00000000BDEC: D0480030 0003BDDE
	v_add3_u32 v45, v222, v48, 1                               // 00000000BDF4: D1FF002D 020661DE
	v_cndmask_b32_e64 v52, v45, v47, s[48:49]                  // 00000000BDFC: D1000034 00C25F2D
	v_cmp_u_f32_e64 s[48:49], v223, v223                       // 00000000BE04: D0480030 0003BFDF
	v_add3_u32 v45, v223, v48, 1                               // 00000000BE0C: D1FF002D 020661DF
	v_cndmask_b32_e64 v53, v45, v47, s[48:49]                  // 00000000BE14: D1000035 00C25F2D
	v_perm_b32 v219, v53, v52, s52                             // 00000000BE1C: D1ED00DB 00D26935
	v_cmp_u_f32_e64 s[48:49], v224, v224                       // 00000000BE24: D0480030 0003C1E0
	v_add3_u32 v45, v224, v48, 1                               // 00000000BE2C: D1FF002D 020661E0
	v_cndmask_b32_e64 v52, v45, v47, s[48:49]                  // 00000000BE34: D1000034 00C25F2D
	v_cmp_u_f32_e64 s[48:49], v225, v225                       // 00000000BE3C: D0480030 0003C3E1
	v_add3_u32 v45, v225, v48, 1                               // 00000000BE44: D1FF002D 020661E1
	v_cndmask_b32_e64 v53, v45, v47, s[48:49]                  // 00000000BE4C: D1000035 00C25F2D
	v_perm_b32 v220, v53, v52, s52                             // 00000000BE54: D1ED00DC 00D26935
	v_cmp_u_f32_e64 s[48:49], v226, v226                       // 00000000BE5C: D0480030 0003C5E2
	v_add3_u32 v45, v226, v48, 1                               // 00000000BE64: D1FF002D 020661E2
	v_cndmask_b32_e64 v52, v45, v47, s[48:49]                  // 00000000BE6C: D1000034 00C25F2D
	v_cmp_u_f32_e64 s[48:49], v227, v227                       // 00000000BE74: D0480030 0003C7E3
	v_add3_u32 v45, v227, v48, 1                               // 00000000BE7C: D1FF002D 020661E3
	v_cndmask_b32_e64 v53, v45, v47, s[48:49]                  // 00000000BE84: D1000035 00C25F2D
	v_perm_b32 v221, v53, v52, s52                             // 00000000BE8C: D1ED00DD 00D26935
	v_cmp_u_f32_e64 s[48:49], v228, v228                       // 00000000BE94: D0480030 0003C9E4
	v_add3_u32 v45, v228, v48, 1                               // 00000000BE9C: D1FF002D 020661E4
	v_cndmask_b32_e64 v52, v45, v47, s[48:49]                  // 00000000BEA4: D1000034 00C25F2D
	v_cmp_u_f32_e64 s[48:49], v229, v229                       // 00000000BEAC: D0480030 0003CBE5
	v_add3_u32 v45, v229, v48, 1                               // 00000000BEB4: D1FF002D 020661E5
	v_cndmask_b32_e64 v53, v45, v47, s[48:49]                  // 00000000BEBC: D1000035 00C25F2D
	v_perm_b32 v222, v53, v52, s52                             // 00000000BEC4: D1ED00DE 00D26935
	v_cmp_u_f32_e64 s[48:49], v230, v230                       // 00000000BECC: D0480030 0003CDE6
	v_add3_u32 v45, v230, v48, 1                               // 00000000BED4: D1FF002D 020661E6
	v_cndmask_b32_e64 v52, v45, v47, s[48:49]                  // 00000000BEDC: D1000034 00C25F2D
	v_cmp_u_f32_e64 s[48:49], v231, v231                       // 00000000BEE4: D0480030 0003CFE7
	v_add3_u32 v45, v231, v48, 1                               // 00000000BEEC: D1FF002D 020661E7
	v_cndmask_b32_e64 v53, v45, v47, s[48:49]                  // 00000000BEF4: D1000035 00C25F2D
	v_perm_b32 v223, v53, v52, s52                             // 00000000BEFC: D1ED00DF 00D26935
	v_cmp_u_f32_e64 s[48:49], v232, v232                       // 00000000BF04: D0480030 0003D1E8
	v_add3_u32 v45, v232, v48, 1                               // 00000000BF0C: D1FF002D 020661E8
	v_cndmask_b32_e64 v52, v45, v47, s[48:49]                  // 00000000BF14: D1000034 00C25F2D
	v_cmp_u_f32_e64 s[48:49], v233, v233                       // 00000000BF1C: D0480030 0003D3E9
	v_add3_u32 v45, v233, v48, 1                               // 00000000BF24: D1FF002D 020661E9
	v_cndmask_b32_e64 v53, v45, v47, s[48:49]                  // 00000000BF2C: D1000035 00C25F2D
	v_perm_b32 v224, v53, v52, s52                             // 00000000BF34: D1ED00E0 00D26935
	v_cmp_u_f32_e64 s[48:49], v234, v234                       // 00000000BF3C: D0480030 0003D5EA
	v_add3_u32 v45, v234, v48, 1                               // 00000000BF44: D1FF002D 020661EA
	v_cndmask_b32_e64 v52, v45, v47, s[48:49]                  // 00000000BF4C: D1000034 00C25F2D
	v_cmp_u_f32_e64 s[48:49], v235, v235                       // 00000000BF54: D0480030 0003D7EB
	v_add3_u32 v45, v235, v48, 1                               // 00000000BF5C: D1FF002D 020661EB
	v_cndmask_b32_e64 v53, v45, v47, s[48:49]                  // 00000000BF64: D1000035 00C25F2D
	v_perm_b32 v225, v53, v52, s52                             // 00000000BF6C: D1ED00E1 00D26935
	v_cmp_u_f32_e64 s[48:49], v236, v236                       // 00000000BF74: D0480030 0003D9EC
	v_add3_u32 v45, v236, v48, 1                               // 00000000BF7C: D1FF002D 020661EC
	v_cndmask_b32_e64 v52, v45, v47, s[48:49]                  // 00000000BF84: D1000034 00C25F2D
	v_cmp_u_f32_e64 s[48:49], v237, v237                       // 00000000BF8C: D0480030 0003DBED
	v_add3_u32 v45, v237, v48, 1                               // 00000000BF94: D1FF002D 020661ED
	v_cndmask_b32_e64 v53, v45, v47, s[48:49]                  // 00000000BF9C: D1000035 00C25F2D
	v_perm_b32 v226, v53, v52, s52                             // 00000000BFA4: D1ED00E2 00D26935
	v_cmp_u_f32_e64 s[48:49], v238, v238                       // 00000000BFAC: D0480030 0003DDEE
	v_add3_u32 v45, v238, v48, 1                               // 00000000BFB4: D1FF002D 020661EE
	v_cndmask_b32_e64 v52, v45, v47, s[48:49]                  // 00000000BFBC: D1000034 00C25F2D
	v_cmp_u_f32_e64 s[48:49], v239, v239                       // 00000000BFC4: D0480030 0003DFEF
	v_add3_u32 v45, v239, v48, 1                               // 00000000BFCC: D1FF002D 020661EF
	v_cndmask_b32_e64 v53, v45, v47, s[48:49]                  // 00000000BFD4: D1000035 00C25F2D
	v_perm_b32 v227, v53, v52, s52                             // 00000000BFDC: D1ED00E3 00D26935
	v_cmp_u_f32_e64 s[48:49], v240, v240                       // 00000000BFE4: D0480030 0003E1F0
	v_add3_u32 v45, v240, v48, 1                               // 00000000BFEC: D1FF002D 020661F0
	v_cndmask_b32_e64 v52, v45, v47, s[48:49]                  // 00000000BFF4: D1000034 00C25F2D
	v_cmp_u_f32_e64 s[48:49], v241, v241                       // 00000000BFFC: D0480030 0003E3F1
	v_add3_u32 v45, v241, v48, 1                               // 00000000C004: D1FF002D 020661F1
	v_cndmask_b32_e64 v53, v45, v47, s[48:49]                  // 00000000C00C: D1000035 00C25F2D
	v_perm_b32 v228, v53, v52, s52                             // 00000000C014: D1ED00E4 00D26935
	v_cmp_u_f32_e64 s[48:49], v242, v242                       // 00000000C01C: D0480030 0003E5F2
	v_add3_u32 v45, v242, v48, 1                               // 00000000C024: D1FF002D 020661F2
	v_cndmask_b32_e64 v52, v45, v47, s[48:49]                  // 00000000C02C: D1000034 00C25F2D
	v_cmp_u_f32_e64 s[48:49], v243, v243                       // 00000000C034: D0480030 0003E7F3
	v_add3_u32 v45, v243, v48, 1                               // 00000000C03C: D1FF002D 020661F3
	v_cndmask_b32_e64 v53, v45, v47, s[48:49]                  // 00000000C044: D1000035 00C25F2D
	v_perm_b32 v229, v53, v52, s52                             // 00000000C04C: D1ED00E5 00D26935
	v_cmp_u_f32_e64 s[48:49], v244, v244                       // 00000000C054: D0480030 0003E9F4
	v_add3_u32 v45, v244, v48, 1                               // 00000000C05C: D1FF002D 020661F4
	v_cndmask_b32_e64 v52, v45, v47, s[48:49]                  // 00000000C064: D1000034 00C25F2D
	v_cmp_u_f32_e64 s[48:49], v245, v245                       // 00000000C06C: D0480030 0003EBF5
	v_add3_u32 v45, v245, v48, 1                               // 00000000C074: D1FF002D 020661F5
	v_cndmask_b32_e64 v53, v45, v47, s[48:49]                  // 00000000C07C: D1000035 00C25F2D
	v_perm_b32 v230, v53, v52, s52                             // 00000000C084: D1ED00E6 00D26935
	v_cmp_u_f32_e64 s[48:49], v246, v246                       // 00000000C08C: D0480030 0003EDF6
	v_add3_u32 v45, v246, v48, 1                               // 00000000C094: D1FF002D 020661F6
	v_cndmask_b32_e64 v52, v45, v47, s[48:49]                  // 00000000C09C: D1000034 00C25F2D
	v_cmp_u_f32_e64 s[48:49], v247, v247                       // 00000000C0A4: D0480030 0003EFF7
	v_add3_u32 v45, v247, v48, 1                               // 00000000C0AC: D1FF002D 020661F7
	v_cndmask_b32_e64 v53, v45, v47, s[48:49]                  // 00000000C0B4: D1000035 00C25F2D
	v_perm_b32 v231, v53, v52, s52                             // 00000000C0BC: D1ED00E7 00D26935
	s_cmp_ge_u32 s80, 0x200                                    // 00000000C0C4: BF09FF50 00000200
	s_cselect_b32 s59, 0x200, s59                              // 00000000C0CC: 853B3BFF 00000200
	s_setvskip s20, 0                                          // 00000000C0D4: BF108014
	global_atomic_pk_add_bf16 v80, v64, s[8:9]                 // 00000000C0D8: DD488000 00084050
	s_setvskip 0, 0                                            // 00000000C0E0: BF108080
	s_setvskip s20, 0                                          // 00000000C0E4: BF108014
	global_atomic_pk_add_bf16 v80, v65, s[8:9] offset:256      // 00000000C0E8: DD488100 00084150
	s_setvskip 0, 0                                            // 00000000C0F0: BF108080
	s_setvskip s20, 1                                          // 00000000C0F4: BF108114
	global_atomic_pk_add_bf16 v82, v66, s[8:9]                 // 00000000C0F8: DD488000 00084252
	s_setvskip 0, 0                                            // 00000000C100: BF108080
	s_setvskip s20, 1                                          // 00000000C104: BF108114
	global_atomic_pk_add_bf16 v82, v67, s[8:9] offset:256      // 00000000C108: DD488100 00084352
	s_setvskip 0, 0                                            // 00000000C110: BF108080
	s_setvskip s20, 2                                          // 00000000C114: BF108214
	global_atomic_pk_add_bf16 v84, v68, s[8:9]                 // 00000000C118: DD488000 00084454
	s_setvskip 0, 0                                            // 00000000C120: BF108080
	s_setvskip s20, 2                                          // 00000000C124: BF108214
	global_atomic_pk_add_bf16 v84, v69, s[8:9] offset:256      // 00000000C128: DD488100 00084554
	s_setvskip 0, 0                                            // 00000000C130: BF108080
	s_setvskip s20, 3                                          // 00000000C134: BF108314
	global_atomic_pk_add_bf16 v86, v70, s[8:9]                 // 00000000C138: DD488000 00084656
	s_setvskip 0, 0                                            // 00000000C140: BF108080
	s_setvskip s20, 3                                          // 00000000C144: BF108314
	global_atomic_pk_add_bf16 v86, v71, s[8:9] offset:256      // 00000000C148: DD488100 00084756
	s_setvskip 0, 0                                            // 00000000C150: BF108080
	s_setvskip s20, 4                                          // 00000000C154: BF108414
	global_atomic_pk_add_bf16 v88, v72, s[8:9]                 // 00000000C158: DD488000 00084858
	s_setvskip 0, 0                                            // 00000000C160: BF108080
	s_setvskip s20, 4                                          // 00000000C164: BF108414
	global_atomic_pk_add_bf16 v88, v73, s[8:9] offset:256      // 00000000C168: DD488100 00084958
	s_setvskip 0, 0                                            // 00000000C170: BF108080
	s_setvskip s20, 5                                          // 00000000C174: BF108514
	global_atomic_pk_add_bf16 v90, v74, s[8:9]                 // 00000000C178: DD488000 00084A5A
	s_setvskip 0, 0                                            // 00000000C180: BF108080
	s_setvskip s20, 5                                          // 00000000C184: BF108514
	global_atomic_pk_add_bf16 v90, v75, s[8:9] offset:256      // 00000000C188: DD488100 00084B5A
	s_setvskip 0, 0                                            // 00000000C190: BF108080
	s_setvskip s20, 6                                          // 00000000C194: BF108614
	global_atomic_pk_add_bf16 v92, v76, s[8:9]                 // 00000000C198: DD488000 00084C5C
	s_setvskip 0, 0                                            // 00000000C1A0: BF108080
	s_setvskip s20, 6                                          // 00000000C1A4: BF108614
	global_atomic_pk_add_bf16 v92, v77, s[8:9] offset:256      // 00000000C1A8: DD488100 00084D5C
	s_setvskip 0, 0                                            // 00000000C1B0: BF108080
	s_setvskip s20, 7                                          // 00000000C1B4: BF108714
	global_atomic_pk_add_bf16 v94, v78, s[8:9]                 // 00000000C1B8: DD488000 00084E5E
	s_setvskip 0, 0                                            // 00000000C1C0: BF108080
	s_setvskip s20, 7                                          // 00000000C1C4: BF108714
	global_atomic_pk_add_bf16 v94, v79, s[8:9] offset:256      // 00000000C1C8: DD488100 00084F5E
	s_setvskip 0, 0                                            // 00000000C1D0: BF108080
	s_add_u32 s8, s59, s8                                      // 00000000C1D4: 8008083B
	s_addc_u32 s9, 0, s9                                       // 00000000C1D8: 82090980
	s_addk_i32 s80, 0x100                                      // 00000000C1DC: B7500100
	s_cmp_lt_i32 s80, s81                                      // 00000000C1E0: BF045150
	s_cbranch_scc0 label_13C1                                  // 00000000C1E4: BF84EEC7
	s_branch label_1ED8                                        // 00000000C1E8: BF82F9DD

000000000000c1ec <label_24FB>:
	s_cmp_ge_u32 s59, 0                                        // 00000000C1EC: BF09803B
	s_cselect_b32 s59, 0x200, s59                              // 00000000C1F0: 853B3BFF 00000200
	s_waitcnt lgkmcnt(0)                                       // 00000000C1F8: BF8CC07F
	s_barrier                                                  // 00000000C1FC: BF8A0000
	s_cmp_eq_u32 s64, 0x100                                    // 00000000C200: BF06FF40 00000100
	s_cbranch_scc0 label_2577                                  // 00000000C208: BF840074
	ds_write_b64 v3, v[184:185] offset:18688                   // 00000000C20C: D89A4900 0000B803
	ds_write_b64 v3, v[186:187] offset:27392                   // 00000000C214: D89A6B00 0000BA03
	ds_write_b64 v3, v[188:189] offset:20864                   // 00000000C21C: D89A5180 0000BC03
	ds_write_b64 v3, v[190:191] offset:29568                   // 00000000C224: D89A7380 0000BE03
	ds_write_b64 v3, v[192:193] offset:23040                   // 00000000C22C: D89A5A00 0000C003
	ds_write_b64 v3, v[194:195] offset:31744                   // 00000000C234: D89A7C00 0000C203
	ds_write_b64 v3, v[196:197] offset:25216                   // 00000000C23C: D89A6280 0000C403
	ds_write_b64 v3, v[198:199] offset:33920                   // 00000000C244: D89A8480 0000C603
	s_waitcnt lgkmcnt(0)                                       // 00000000C24C: BF8CC07F
	s_barrier                                                  // 00000000C250: BF8A0000
	ds_read_b32 v64, v4 offset:18688                           // 00000000C254: D86C4900 40000004
	ds_read_b32 v65, v4 offset:23040                           // 00000000C25C: D86C5A00 41000004
	ds_read_b32 v66, v4 offset:18720                           // 00000000C264: D86C4920 42000004
	ds_read_b32 v67, v4 offset:23072                           // 00000000C26C: D86C5A20 43000004
	ds_read_b32 v68, v4 offset:18752                           // 00000000C274: D86C4940 44000004
	ds_read_b32 v69, v4 offset:23104                           // 00000000C27C: D86C5A40 45000004
	ds_read_b32 v70, v4 offset:18784                           // 00000000C284: D86C4960 46000004
	ds_read_b32 v71, v4 offset:23136                           // 00000000C28C: D86C5A60 47000004
	ds_read_b32 v72, v4 offset:27392                           // 00000000C294: D86C6B00 48000004
	ds_read_b32 v73, v4 offset:31744                           // 00000000C29C: D86C7C00 49000004
	ds_read_b32 v74, v4 offset:27424                           // 00000000C2A4: D86C6B20 4A000004
	ds_read_b32 v75, v4 offset:31776                           // 00000000C2AC: D86C7C20 4B000004
	ds_read_b32 v76, v4 offset:27456                           // 00000000C2B4: D86C6B40 4C000004
	ds_read_b32 v77, v4 offset:31808                           // 00000000C2BC: D86C7C40 4D000004
	ds_read_b32 v78, v4 offset:27488                           // 00000000C2C4: D86C6B60 4E000004
	ds_read_b32 v79, v4 offset:31840                           // 00000000C2CC: D86C7C60 4F000004
	s_waitcnt lgkmcnt(0)                                       // 00000000C2D4: BF8CC07F
	s_setvskip s20, 0                                          // 00000000C2D8: BF108014
	global_atomic_pk_add_bf16 v80, v64, s[8:9]                 // 00000000C2DC: DD488000 00084050
	s_setvskip 0, 0                                            // 00000000C2E4: BF108080
	s_setvskip s20, 0                                          // 00000000C2E8: BF108014
	global_atomic_pk_add_bf16 v80, v65, s[8:9] offset:256      // 00000000C2EC: DD488100 00084150
	s_setvskip 0, 0                                            // 00000000C2F4: BF108080
	s_setvskip s20, 1                                          // 00000000C2F8: BF108114
	global_atomic_pk_add_bf16 v82, v66, s[8:9]                 // 00000000C2FC: DD488000 00084252
	s_setvskip 0, 0                                            // 00000000C304: BF108080
	s_setvskip s20, 1                                          // 00000000C308: BF108114
	global_atomic_pk_add_bf16 v82, v67, s[8:9] offset:256      // 00000000C30C: DD488100 00084352
	s_setvskip 0, 0                                            // 00000000C314: BF108080
	s_setvskip s20, 2                                          // 00000000C318: BF108214
	global_atomic_pk_add_bf16 v84, v68, s[8:9]                 // 00000000C31C: DD488000 00084454
	s_setvskip 0, 0                                            // 00000000C324: BF108080
	s_setvskip s20, 2                                          // 00000000C328: BF108214
	global_atomic_pk_add_bf16 v84, v69, s[8:9] offset:256      // 00000000C32C: DD488100 00084554
	s_setvskip 0, 0                                            // 00000000C334: BF108080
	s_setvskip s20, 3                                          // 00000000C338: BF108314
	global_atomic_pk_add_bf16 v86, v70, s[8:9]                 // 00000000C33C: DD488000 00084656
	s_setvskip 0, 0                                            // 00000000C344: BF108080
	s_setvskip s20, 3                                          // 00000000C348: BF108314
	global_atomic_pk_add_bf16 v86, v71, s[8:9] offset:256      // 00000000C34C: DD488100 00084756
	s_setvskip 0, 0                                            // 00000000C354: BF108080
	s_setvskip s20, 4                                          // 00000000C358: BF108414
	global_atomic_pk_add_bf16 v88, v72, s[8:9]                 // 00000000C35C: DD488000 00084858
	s_setvskip 0, 0                                            // 00000000C364: BF108080
	s_setvskip s20, 4                                          // 00000000C368: BF108414
	global_atomic_pk_add_bf16 v88, v73, s[8:9] offset:256      // 00000000C36C: DD488100 00084958
	s_setvskip 0, 0                                            // 00000000C374: BF108080
	s_setvskip s20, 5                                          // 00000000C378: BF108514
	global_atomic_pk_add_bf16 v90, v74, s[8:9]                 // 00000000C37C: DD488000 00084A5A
	s_setvskip 0, 0                                            // 00000000C384: BF108080
	s_setvskip s20, 5                                          // 00000000C388: BF108514
	global_atomic_pk_add_bf16 v90, v75, s[8:9] offset:256      // 00000000C38C: DD488100 00084B5A
	s_setvskip 0, 0                                            // 00000000C394: BF108080
	s_setvskip s20, 6                                          // 00000000C398: BF108614
	global_atomic_pk_add_bf16 v92, v76, s[8:9]                 // 00000000C39C: DD488000 00084C5C
	s_setvskip 0, 0                                            // 00000000C3A4: BF108080
	s_setvskip s20, 6                                          // 00000000C3A8: BF108614
	global_atomic_pk_add_bf16 v92, v77, s[8:9] offset:256      // 00000000C3AC: DD488100 00084D5C
	s_setvskip 0, 0                                            // 00000000C3B4: BF108080
	s_setvskip s20, 7                                          // 00000000C3B8: BF108714
	global_atomic_pk_add_bf16 v94, v78, s[8:9]                 // 00000000C3BC: DD488000 00084E5E
	s_setvskip 0, 0                                            // 00000000C3C4: BF108080
	s_setvskip s20, 7                                          // 00000000C3C8: BF108714
	global_atomic_pk_add_bf16 v94, v79, s[8:9] offset:256      // 00000000C3CC: DD488100 00084F5E
	s_setvskip 0, 0                                            // 00000000C3D4: BF108080
	s_branch label_264D                                        // 00000000C3D8: BF8200D6

000000000000c3dc <label_2577>:
	ds_read_b32 v64, v4 offset:18688                           // 00000000C3DC: D86C4900 40000004
	ds_read_b32 v65, v4 offset:23040                           // 00000000C3E4: D86C5A00 41000004
	ds_read_b32 v66, v4 offset:18720                           // 00000000C3EC: D86C4920 42000004
	ds_read_b32 v67, v4 offset:23072                           // 00000000C3F4: D86C5A20 43000004
	ds_read_b32 v68, v4 offset:18752                           // 00000000C3FC: D86C4940 44000004
	ds_read_b32 v69, v4 offset:23104                           // 00000000C404: D86C5A40 45000004
	ds_read_b32 v70, v4 offset:18784                           // 00000000C40C: D86C4960 46000004
	ds_read_b32 v71, v4 offset:23136                           // 00000000C414: D86C5A60 47000004
	ds_read_b32 v72, v4 offset:27392                           // 00000000C41C: D86C6B00 48000004
	ds_read_b32 v73, v4 offset:31744                           // 00000000C424: D86C7C00 49000004
	ds_read_b32 v74, v4 offset:27424                           // 00000000C42C: D86C6B20 4A000004
	ds_read_b32 v75, v4 offset:31776                           // 00000000C434: D86C7C20 4B000004
	ds_read_b32 v76, v4 offset:27456                           // 00000000C43C: D86C6B40 4C000004
	ds_read_b32 v77, v4 offset:31808                           // 00000000C444: D86C7C40 4D000004
	ds_read_b32 v78, v4 offset:27488                           // 00000000C44C: D86C6B60 4E000004
	ds_read_b32 v79, v4 offset:31840                           // 00000000C454: D86C7C60 4F000004
	s_waitcnt lgkmcnt(0)                                       // 00000000C45C: BF8CC07F
	s_setvskip s20, 0                                          // 00000000C460: BF108014
	global_atomic_pk_add_bf16 v80, v64, s[8:9]                 // 00000000C464: DD488000 00084050
	s_setvskip 0, 0                                            // 00000000C46C: BF108080
	s_setvskip s20, 0                                          // 00000000C470: BF108014
	global_atomic_pk_add_bf16 v80, v65, s[8:9] offset:256      // 00000000C474: DD488100 00084150
	s_setvskip 0, 0                                            // 00000000C47C: BF108080
	s_setvskip s20, 1                                          // 00000000C480: BF108114
	global_atomic_pk_add_bf16 v82, v66, s[8:9]                 // 00000000C484: DD488000 00084252
	s_setvskip 0, 0                                            // 00000000C48C: BF108080
	s_setvskip s20, 1                                          // 00000000C490: BF108114
	global_atomic_pk_add_bf16 v82, v67, s[8:9] offset:256      // 00000000C494: DD488100 00084352
	s_setvskip 0, 0                                            // 00000000C49C: BF108080
	s_setvskip s20, 2                                          // 00000000C4A0: BF108214
	global_atomic_pk_add_bf16 v84, v68, s[8:9]                 // 00000000C4A4: DD488000 00084454
	s_setvskip 0, 0                                            // 00000000C4AC: BF108080
	s_setvskip s20, 2                                          // 00000000C4B0: BF108214
	global_atomic_pk_add_bf16 v84, v69, s[8:9] offset:256      // 00000000C4B4: DD488100 00084554
	s_setvskip 0, 0                                            // 00000000C4BC: BF108080
	s_setvskip s20, 3                                          // 00000000C4C0: BF108314
	global_atomic_pk_add_bf16 v86, v70, s[8:9]                 // 00000000C4C4: DD488000 00084656
	s_setvskip 0, 0                                            // 00000000C4CC: BF108080
	s_setvskip s20, 3                                          // 00000000C4D0: BF108314
	global_atomic_pk_add_bf16 v86, v71, s[8:9] offset:256      // 00000000C4D4: DD488100 00084756
	s_setvskip 0, 0                                            // 00000000C4DC: BF108080
	s_setvskip s20, 4                                          // 00000000C4E0: BF108414
	global_atomic_pk_add_bf16 v88, v72, s[8:9]                 // 00000000C4E4: DD488000 00084858
	s_setvskip 0, 0                                            // 00000000C4EC: BF108080
	s_setvskip s20, 4                                          // 00000000C4F0: BF108414
	global_atomic_pk_add_bf16 v88, v73, s[8:9] offset:256      // 00000000C4F4: DD488100 00084958
	s_setvskip 0, 0                                            // 00000000C4FC: BF108080
	s_setvskip s20, 5                                          // 00000000C500: BF108514
	global_atomic_pk_add_bf16 v90, v74, s[8:9]                 // 00000000C504: DD488000 00084A5A
	s_setvskip 0, 0                                            // 00000000C50C: BF108080
	s_setvskip s20, 5                                          // 00000000C510: BF108514
	global_atomic_pk_add_bf16 v90, v75, s[8:9] offset:256      // 00000000C514: DD488100 00084B5A
	s_setvskip 0, 0                                            // 00000000C51C: BF108080
	s_setvskip s20, 6                                          // 00000000C520: BF108614
	global_atomic_pk_add_bf16 v92, v76, s[8:9]                 // 00000000C524: DD488000 00084C5C
	s_setvskip 0, 0                                            // 00000000C52C: BF108080
	s_setvskip s20, 6                                          // 00000000C530: BF108614
	global_atomic_pk_add_bf16 v92, v77, s[8:9] offset:256      // 00000000C534: DD488100 00084D5C
	s_setvskip 0, 0                                            // 00000000C53C: BF108080
	s_setvskip s20, 7                                          // 00000000C540: BF108714
	global_atomic_pk_add_bf16 v94, v78, s[8:9]                 // 00000000C544: DD488000 00084E5E
	s_setvskip 0, 0                                            // 00000000C54C: BF108080
	s_setvskip s20, 7                                          // 00000000C550: BF108714
	global_atomic_pk_add_bf16 v94, v79, s[8:9] offset:256      // 00000000C554: DD488100 00084F5E
	s_setvskip 0, 0                                            // 00000000C55C: BF108080
	s_add_u32 s8, s59, s8                                      // 00000000C560: 8008083B
	s_addc_u32 s9, 0, s9                                       // 00000000C564: 82090980
	ds_write_b64 v3, v[216:217] offset:36096                   // 00000000C568: D89A8D00 0000D803
	ds_write_b64 v3, v[218:219] offset:44800                   // 00000000C570: D89AAF00 0000DA03
	ds_write_b64 v3, v[220:221] offset:38272                   // 00000000C578: D89A9580 0000DC03
	ds_write_b64 v3, v[222:223] offset:46976                   // 00000000C580: D89AB780 0000DE03
	ds_write_b64 v3, v[224:225] offset:40448                   // 00000000C588: D89A9E00 0000E003
	ds_write_b64 v3, v[226:227] offset:49152                   // 00000000C590: D89AC000 0000E203
	ds_write_b64 v3, v[228:229] offset:42624                   // 00000000C598: D89AA680 0000E403
	ds_write_b64 v3, v[230:231] offset:51328                   // 00000000C5A0: D89AC880 0000E603
	s_waitcnt lgkmcnt(0)                                       // 00000000C5A8: BF8CC07F
	s_barrier                                                  // 00000000C5AC: BF8A0000
	ds_read_b32 v64, v4 offset:36096                           // 00000000C5B0: D86C8D00 40000004
	ds_read_b32 v65, v4 offset:40448                           // 00000000C5B8: D86C9E00 41000004
	ds_read_b32 v66, v4 offset:36128                           // 00000000C5C0: D86C8D20 42000004
	ds_read_b32 v67, v4 offset:40480                           // 00000000C5C8: D86C9E20 43000004
	ds_read_b32 v68, v4 offset:36160                           // 00000000C5D0: D86C8D40 44000004
	ds_read_b32 v69, v4 offset:40512                           // 00000000C5D8: D86C9E40 45000004
	ds_read_b32 v70, v4 offset:36192                           // 00000000C5E0: D86C8D60 46000004
	ds_read_b32 v71, v4 offset:40544                           // 00000000C5E8: D86C9E60 47000004
	ds_read_b32 v72, v4 offset:44800                           // 00000000C5F0: D86CAF00 48000004
	ds_read_b32 v73, v4 offset:49152                           // 00000000C5F8: D86CC000 49000004
	ds_read_b32 v74, v4 offset:44832                           // 00000000C600: D86CAF20 4A000004
	ds_read_b32 v75, v4 offset:49184                           // 00000000C608: D86CC020 4B000004
	ds_read_b32 v76, v4 offset:44864                           // 00000000C610: D86CAF40 4C000004
	ds_read_b32 v77, v4 offset:49216                           // 00000000C618: D86CC040 4D000004
	ds_read_b32 v78, v4 offset:44896                           // 00000000C620: D86CAF60 4E000004
	ds_read_b32 v79, v4 offset:49248                           // 00000000C628: D86CC060 4F000004
	s_waitcnt lgkmcnt(0)                                       // 00000000C630: BF8CC07F
	s_setvskip s20, 0                                          // 00000000C634: BF108014
	global_atomic_pk_add_bf16 v80, v64, s[8:9]                 // 00000000C638: DD488000 00084050
	s_setvskip 0, 0                                            // 00000000C640: BF108080
	s_setvskip s20, 0                                          // 00000000C644: BF108014
	global_atomic_pk_add_bf16 v80, v65, s[8:9] offset:256      // 00000000C648: DD488100 00084150
	s_setvskip 0, 0                                            // 00000000C650: BF108080
	s_setvskip s20, 1                                          // 00000000C654: BF108114
	global_atomic_pk_add_bf16 v82, v66, s[8:9]                 // 00000000C658: DD488000 00084252
	s_setvskip 0, 0                                            // 00000000C660: BF108080
	s_setvskip s20, 1                                          // 00000000C664: BF108114
	global_atomic_pk_add_bf16 v82, v67, s[8:9] offset:256      // 00000000C668: DD488100 00084352
	s_setvskip 0, 0                                            // 00000000C670: BF108080
	s_setvskip s20, 2                                          // 00000000C674: BF108214
	global_atomic_pk_add_bf16 v84, v68, s[8:9]                 // 00000000C678: DD488000 00084454
	s_setvskip 0, 0                                            // 00000000C680: BF108080
	s_setvskip s20, 2                                          // 00000000C684: BF108214
	global_atomic_pk_add_bf16 v84, v69, s[8:9] offset:256      // 00000000C688: DD488100 00084554
	s_setvskip 0, 0                                            // 00000000C690: BF108080
	s_setvskip s20, 3                                          // 00000000C694: BF108314
	global_atomic_pk_add_bf16 v86, v70, s[8:9]                 // 00000000C698: DD488000 00084656
	s_setvskip 0, 0                                            // 00000000C6A0: BF108080
	s_setvskip s20, 3                                          // 00000000C6A4: BF108314
	global_atomic_pk_add_bf16 v86, v71, s[8:9] offset:256      // 00000000C6A8: DD488100 00084756
	s_setvskip 0, 0                                            // 00000000C6B0: BF108080
	s_setvskip s20, 4                                          // 00000000C6B4: BF108414
	global_atomic_pk_add_bf16 v88, v72, s[8:9]                 // 00000000C6B8: DD488000 00084858
	s_setvskip 0, 0                                            // 00000000C6C0: BF108080
	s_setvskip s20, 4                                          // 00000000C6C4: BF108414
	global_atomic_pk_add_bf16 v88, v73, s[8:9] offset:256      // 00000000C6C8: DD488100 00084958
	s_setvskip 0, 0                                            // 00000000C6D0: BF108080
	s_setvskip s20, 5                                          // 00000000C6D4: BF108514
	global_atomic_pk_add_bf16 v90, v74, s[8:9]                 // 00000000C6D8: DD488000 00084A5A
	s_setvskip 0, 0                                            // 00000000C6E0: BF108080
	s_setvskip s20, 5                                          // 00000000C6E4: BF108514
	global_atomic_pk_add_bf16 v90, v75, s[8:9] offset:256      // 00000000C6E8: DD488100 00084B5A
	s_setvskip 0, 0                                            // 00000000C6F0: BF108080
	s_setvskip s20, 6                                          // 00000000C6F4: BF108614
	global_atomic_pk_add_bf16 v92, v76, s[8:9]                 // 00000000C6F8: DD488000 00084C5C
	s_setvskip 0, 0                                            // 00000000C700: BF108080
	s_setvskip s20, 6                                          // 00000000C704: BF108614
	global_atomic_pk_add_bf16 v92, v77, s[8:9] offset:256      // 00000000C708: DD488100 00084D5C
	s_setvskip 0, 0                                            // 00000000C710: BF108080
	s_setvskip s20, 7                                          // 00000000C714: BF108714
	global_atomic_pk_add_bf16 v94, v78, s[8:9]                 // 00000000C718: DD488000 00084E5E
	s_setvskip 0, 0                                            // 00000000C720: BF108080
	s_setvskip s20, 7                                          // 00000000C724: BF108714
	global_atomic_pk_add_bf16 v94, v79, s[8:9] offset:256      // 00000000C728: DD488100 00084F5E
	s_setvskip 0, 0                                            // 00000000C730: BF108080

000000000000c734 <label_264D>:
	s_waitcnt vmcnt(0) expcnt(0) lgkmcnt(0)                    // 00000000C734: BF8C0000
	s_endpgm                                                   // 00000000C738: BF810000
